;; amdgpu-corpus repo=ROCm/rocFFT kind=compiled arch=gfx950 opt=O3
	.text
	.amdgcn_target "amdgcn-amd-amdhsa--gfx950"
	.amdhsa_code_object_version 6
	.protected	fft_rtc_back_len850_factors_10_5_17_wgs_85_tpt_85_sp_ip_CI_unitstride_sbrr_R2C_dirReg ; -- Begin function fft_rtc_back_len850_factors_10_5_17_wgs_85_tpt_85_sp_ip_CI_unitstride_sbrr_R2C_dirReg
	.globl	fft_rtc_back_len850_factors_10_5_17_wgs_85_tpt_85_sp_ip_CI_unitstride_sbrr_R2C_dirReg
	.p2align	8
	.type	fft_rtc_back_len850_factors_10_5_17_wgs_85_tpt_85_sp_ip_CI_unitstride_sbrr_R2C_dirReg,@function
fft_rtc_back_len850_factors_10_5_17_wgs_85_tpt_85_sp_ip_CI_unitstride_sbrr_R2C_dirReg: ; @fft_rtc_back_len850_factors_10_5_17_wgs_85_tpt_85_sp_ip_CI_unitstride_sbrr_R2C_dirReg
; %bb.0:
	s_load_dwordx2 s[8:9], s[0:1], 0x50
	s_load_dwordx4 s[4:7], s[0:1], 0x0
	s_load_dwordx2 s[10:11], s[0:1], 0x18
	v_mul_u32_u24_e32 v1, 0x304, v0
	v_add_u32_sdwa v6, s2, v1 dst_sel:DWORD dst_unused:UNUSED_PAD src0_sel:DWORD src1_sel:WORD_1
	v_mov_b32_e32 v4, 0
	s_waitcnt lgkmcnt(0)
	v_cmp_lt_u64_e64 s[2:3], s[6:7], 2
	v_mov_b32_e32 v7, v4
	s_and_b64 vcc, exec, s[2:3]
	v_mov_b64_e32 v[2:3], 0
	s_cbranch_vccnz .LBB0_8
; %bb.1:
	s_load_dwordx2 s[2:3], s[0:1], 0x10
	s_add_u32 s12, s10, 8
	s_addc_u32 s13, s11, 0
	s_mov_b64 s[14:15], 1
	v_mov_b64_e32 v[2:3], 0
	s_waitcnt lgkmcnt(0)
	s_add_u32 s16, s2, 8
	s_addc_u32 s17, s3, 0
.LBB0_2:                                ; =>This Inner Loop Header: Depth=1
	s_load_dwordx2 s[18:19], s[16:17], 0x0
                                        ; implicit-def: $vgpr8_vgpr9
	s_waitcnt lgkmcnt(0)
	v_or_b32_e32 v5, s19, v7
	v_cmp_ne_u64_e32 vcc, 0, v[4:5]
	s_and_saveexec_b64 s[2:3], vcc
	s_xor_b64 s[20:21], exec, s[2:3]
	s_cbranch_execz .LBB0_4
; %bb.3:                                ;   in Loop: Header=BB0_2 Depth=1
	v_cvt_f32_u32_e32 v1, s18
	v_cvt_f32_u32_e32 v5, s19
	s_sub_u32 s2, 0, s18
	s_subb_u32 s3, 0, s19
	v_fmac_f32_e32 v1, 0x4f800000, v5
	v_rcp_f32_e32 v1, v1
	s_nop 0
	v_mul_f32_e32 v1, 0x5f7ffffc, v1
	v_mul_f32_e32 v5, 0x2f800000, v1
	v_trunc_f32_e32 v5, v5
	v_fmac_f32_e32 v1, 0xcf800000, v5
	v_cvt_u32_f32_e32 v5, v5
	v_cvt_u32_f32_e32 v1, v1
	v_mul_lo_u32 v8, s2, v5
	v_mul_hi_u32 v10, s2, v1
	v_mul_lo_u32 v9, s3, v1
	v_add_u32_e32 v10, v10, v8
	v_mul_lo_u32 v12, s2, v1
	v_add_u32_e32 v13, v10, v9
	v_mul_hi_u32 v8, v1, v12
	v_mul_hi_u32 v11, v1, v13
	v_mul_lo_u32 v10, v1, v13
	v_mov_b32_e32 v9, v4
	v_lshl_add_u64 v[8:9], v[8:9], 0, v[10:11]
	v_mul_hi_u32 v11, v5, v12
	v_mul_lo_u32 v12, v5, v12
	v_add_co_u32_e32 v8, vcc, v8, v12
	v_mul_hi_u32 v10, v5, v13
	s_nop 0
	v_addc_co_u32_e32 v8, vcc, v9, v11, vcc
	v_mov_b32_e32 v9, v4
	s_nop 0
	v_addc_co_u32_e32 v11, vcc, 0, v10, vcc
	v_mul_lo_u32 v10, v5, v13
	v_lshl_add_u64 v[8:9], v[8:9], 0, v[10:11]
	v_add_co_u32_e32 v1, vcc, v1, v8
	v_mul_lo_u32 v10, s2, v1
	s_nop 0
	v_addc_co_u32_e32 v5, vcc, v5, v9, vcc
	v_mul_lo_u32 v8, s2, v5
	v_mul_hi_u32 v9, s2, v1
	v_add_u32_e32 v8, v9, v8
	v_mul_lo_u32 v9, s3, v1
	v_add_u32_e32 v12, v8, v9
	v_mul_hi_u32 v14, v5, v10
	v_mul_lo_u32 v15, v5, v10
	v_mul_hi_u32 v9, v1, v12
	v_mul_lo_u32 v8, v1, v12
	v_mul_hi_u32 v10, v1, v10
	v_mov_b32_e32 v11, v4
	v_lshl_add_u64 v[8:9], v[10:11], 0, v[8:9]
	v_add_co_u32_e32 v8, vcc, v8, v15
	v_mul_hi_u32 v13, v5, v12
	s_nop 0
	v_addc_co_u32_e32 v8, vcc, v9, v14, vcc
	v_mul_lo_u32 v10, v5, v12
	s_nop 0
	v_addc_co_u32_e32 v11, vcc, 0, v13, vcc
	v_mov_b32_e32 v9, v4
	v_lshl_add_u64 v[8:9], v[8:9], 0, v[10:11]
	v_add_co_u32_e32 v1, vcc, v1, v8
	v_mul_hi_u32 v10, v6, v1
	s_nop 0
	v_addc_co_u32_e32 v5, vcc, v5, v9, vcc
	v_mad_u64_u32 v[8:9], s[2:3], v6, v5, 0
	v_mov_b32_e32 v11, v4
	v_lshl_add_u64 v[8:9], v[10:11], 0, v[8:9]
	v_mad_u64_u32 v[12:13], s[2:3], v7, v1, 0
	v_add_co_u32_e32 v1, vcc, v8, v12
	v_mad_u64_u32 v[10:11], s[2:3], v7, v5, 0
	s_nop 0
	v_addc_co_u32_e32 v8, vcc, v9, v13, vcc
	v_mov_b32_e32 v9, v4
	s_nop 0
	v_addc_co_u32_e32 v11, vcc, 0, v11, vcc
	v_lshl_add_u64 v[8:9], v[8:9], 0, v[10:11]
	v_mul_lo_u32 v1, s19, v8
	v_mul_lo_u32 v5, s18, v9
	v_mad_u64_u32 v[10:11], s[2:3], s18, v8, 0
	v_add3_u32 v1, v11, v5, v1
	v_sub_u32_e32 v5, v7, v1
	v_mov_b32_e32 v11, s19
	v_sub_co_u32_e32 v14, vcc, v6, v10
	v_lshl_add_u64 v[12:13], v[8:9], 0, 1
	s_nop 0
	v_subb_co_u32_e64 v5, s[2:3], v5, v11, vcc
	v_subrev_co_u32_e64 v10, s[2:3], s18, v14
	v_subb_co_u32_e32 v1, vcc, v7, v1, vcc
	s_nop 0
	v_subbrev_co_u32_e64 v5, s[2:3], 0, v5, s[2:3]
	v_cmp_le_u32_e64 s[2:3], s19, v5
	v_cmp_le_u32_e32 vcc, s19, v1
	s_nop 0
	v_cndmask_b32_e64 v11, 0, -1, s[2:3]
	v_cmp_le_u32_e64 s[2:3], s18, v10
	s_nop 1
	v_cndmask_b32_e64 v10, 0, -1, s[2:3]
	v_cmp_eq_u32_e64 s[2:3], s19, v5
	s_nop 1
	v_cndmask_b32_e64 v5, v11, v10, s[2:3]
	v_lshl_add_u64 v[10:11], v[8:9], 0, 2
	v_cmp_ne_u32_e64 s[2:3], 0, v5
	s_nop 1
	v_cndmask_b32_e64 v5, v13, v11, s[2:3]
	v_cndmask_b32_e64 v11, 0, -1, vcc
	v_cmp_le_u32_e32 vcc, s18, v14
	s_nop 1
	v_cndmask_b32_e64 v13, 0, -1, vcc
	v_cmp_eq_u32_e32 vcc, s19, v1
	s_nop 1
	v_cndmask_b32_e32 v1, v11, v13, vcc
	v_cmp_ne_u32_e32 vcc, 0, v1
	v_cndmask_b32_e64 v1, v12, v10, s[2:3]
	s_nop 0
	v_cndmask_b32_e32 v9, v9, v5, vcc
	v_cndmask_b32_e32 v8, v8, v1, vcc
.LBB0_4:                                ;   in Loop: Header=BB0_2 Depth=1
	s_andn2_saveexec_b64 s[2:3], s[20:21]
	s_cbranch_execz .LBB0_6
; %bb.5:                                ;   in Loop: Header=BB0_2 Depth=1
	v_cvt_f32_u32_e32 v1, s18
	s_sub_i32 s20, 0, s18
	v_rcp_iflag_f32_e32 v1, v1
	s_nop 0
	v_mul_f32_e32 v1, 0x4f7ffffe, v1
	v_cvt_u32_f32_e32 v1, v1
	v_mul_lo_u32 v5, s20, v1
	v_mul_hi_u32 v5, v1, v5
	v_add_u32_e32 v1, v1, v5
	v_mul_hi_u32 v1, v6, v1
	v_mul_lo_u32 v5, v1, s18
	v_sub_u32_e32 v5, v6, v5
	v_add_u32_e32 v8, 1, v1
	v_subrev_u32_e32 v9, s18, v5
	v_cmp_le_u32_e32 vcc, s18, v5
	s_nop 1
	v_cndmask_b32_e32 v5, v5, v9, vcc
	v_cndmask_b32_e32 v1, v1, v8, vcc
	v_add_u32_e32 v8, 1, v1
	v_cmp_le_u32_e32 vcc, s18, v5
	v_mov_b32_e32 v9, v4
	s_nop 0
	v_cndmask_b32_e32 v8, v1, v8, vcc
.LBB0_6:                                ;   in Loop: Header=BB0_2 Depth=1
	s_or_b64 exec, exec, s[2:3]
	v_mad_u64_u32 v[10:11], s[2:3], v8, s18, 0
	s_load_dwordx2 s[2:3], s[12:13], 0x0
	v_mul_lo_u32 v1, v9, s18
	v_mul_lo_u32 v5, v8, s19
	v_add3_u32 v1, v11, v5, v1
	v_sub_co_u32_e32 v5, vcc, v6, v10
	s_add_u32 s14, s14, 1
	s_nop 0
	v_subb_co_u32_e32 v1, vcc, v7, v1, vcc
	s_addc_u32 s15, s15, 0
	s_waitcnt lgkmcnt(0)
	v_mul_lo_u32 v1, s2, v1
	v_mul_lo_u32 v6, s3, v5
	v_mad_u64_u32 v[2:3], s[2:3], s2, v5, v[2:3]
	s_add_u32 s12, s12, 8
	v_add3_u32 v3, v6, v3, v1
	s_addc_u32 s13, s13, 0
	v_mov_b64_e32 v[6:7], s[6:7]
	s_add_u32 s16, s16, 8
	v_cmp_ge_u64_e32 vcc, s[14:15], v[6:7]
	s_addc_u32 s17, s17, 0
	s_cbranch_vccnz .LBB0_9
; %bb.7:                                ;   in Loop: Header=BB0_2 Depth=1
	v_mov_b64_e32 v[6:7], v[8:9]
	s_branch .LBB0_2
.LBB0_8:
	v_mov_b64_e32 v[8:9], v[6:7]
.LBB0_9:
	s_lshl_b64 s[2:3], s[6:7], 3
	s_add_u32 s2, s10, s2
	s_addc_u32 s3, s11, s3
	s_load_dwordx2 s[6:7], s[2:3], 0x0
	s_load_dwordx2 s[10:11], s[0:1], 0x20
	s_mov_b32 s2, 0x3030304
                                        ; implicit-def: $vgpr36
	s_waitcnt lgkmcnt(0)
	v_mul_lo_u32 v1, s6, v9
	v_mul_lo_u32 v4, s7, v8
	v_mad_u64_u32 v[2:3], s[0:1], s6, v8, v[2:3]
	v_add3_u32 v3, v4, v3, v1
	v_mul_hi_u32 v1, v0, s2
	v_mul_u32_u24_e32 v1, 0x55, v1
	v_cmp_gt_u64_e64 s[0:1], s[10:11], v[8:9]
	v_cmp_le_u64_e32 vcc, s[10:11], v[8:9]
	v_sub_u32_e32 v32, v0, v1
	s_and_saveexec_b64 s[2:3], vcc
	s_xor_b64 s[2:3], exec, s[2:3]
; %bb.10:
	v_add_u32_e32 v36, 0x55, v32
; %bb.11:
	s_or_saveexec_b64 s[2:3], s[2:3]
	v_lshl_add_u64 v[34:35], v[2:3], 3, s[8:9]
	v_lshl_add_u32 v96, v32, 3, 0
	s_xor_b64 exec, exec, s[2:3]
	s_cbranch_execz .LBB0_13
; %bb.12:
	v_mov_b32_e32 v33, 0
	v_lshl_add_u64 v[0:1], v[32:33], 3, v[34:35]
	v_add_co_u32_e32 v10, vcc, 0x1000, v0
	global_load_dwordx2 v[2:3], v[0:1], off
	global_load_dwordx2 v[4:5], v[0:1], off offset:680
	global_load_dwordx2 v[6:7], v[0:1], off offset:1360
	;; [unrolled: 1-line block ×3, first 2 shown]
	v_addc_co_u32_e32 v11, vcc, 0, v1, vcc
	global_load_dwordx2 v[12:13], v[0:1], off offset:2720
	global_load_dwordx2 v[14:15], v[0:1], off offset:3400
	;; [unrolled: 1-line block ×6, first 2 shown]
	v_add_u32_e32 v36, 0x55, v32
	v_add_u32_e32 v0, 0x800, v96
	;; [unrolled: 1-line block ×4, first 2 shown]
	s_waitcnt vmcnt(8)
	ds_write2_b64 v96, v[2:3], v[4:5] offset1:85
	s_waitcnt vmcnt(6)
	ds_write2_b64 v96, v[6:7], v[8:9] offset0:170 offset1:255
	s_waitcnt vmcnt(4)
	ds_write2_b64 v0, v[12:13], v[14:15] offset0:84 offset1:169
	;; [unrolled: 2-line block ×4, first 2 shown]
.LBB0_13:
	s_or_b64 exec, exec, s[2:3]
	v_add_u32_e32 v21, 0x800, v96
	v_add_u32_e32 v20, 0xc00, v96
	;; [unrolled: 1-line block ×3, first 2 shown]
	s_waitcnt lgkmcnt(0)
	s_barrier
	ds_read2_b64 v[0:3], v96 offset1:85
	ds_read2_b64 v[4:7], v96 offset0:170 offset1:255
	ds_read2_b64 v[8:11], v21 offset0:84 offset1:169
	ds_read2_b64 v[12:15], v20 offset0:126 offset1:211
	ds_read2_b64 v[16:19], v28 offset0:168 offset1:253
	s_mov_b32 s6, 0x3f737871
	s_mov_b32 s8, 0x3f167918
	s_waitcnt lgkmcnt(2)
	v_pk_add_f32 v[42:43], v[4:5], v[8:9] neg_lo:[0,1] neg_hi:[0,1]
	s_waitcnt lgkmcnt(1)
	v_pk_add_f32 v[24:25], v[8:9], v[12:13]
	s_waitcnt lgkmcnt(0)
	v_pk_add_f32 v[26:27], v[4:5], v[16:17] neg_lo:[0,1] neg_hi:[0,1]
	v_pk_fma_f32 v[24:25], v[24:25], 0.5, v[0:1] op_sel_hi:[1,0,1] neg_lo:[1,0,0] neg_hi:[1,0,0]
	v_pk_mul_f32 v[30:31], v[26:27], s[6:7] op_sel_hi:[1,0]
	v_pk_add_f32 v[38:39], v[8:9], v[12:13] neg_lo:[0,1] neg_hi:[0,1]
	v_pk_add_f32 v[44:45], v[16:17], v[12:13] neg_lo:[0,1] neg_hi:[0,1]
	v_pk_mul_f32 v[40:41], v[38:39], s[8:9] op_sel_hi:[1,0]
	v_pk_add_f32 v[42:43], v[42:43], v[44:45]
	v_pk_add_f32 v[44:45], v[24:25], v[30:31] op_sel:[0,1] op_sel_hi:[1,0] neg_lo:[0,1] neg_hi:[0,1]
	v_pk_add_f32 v[24:25], v[24:25], v[30:31] op_sel:[0,1] op_sel_hi:[1,0]
	v_pk_add_f32 v[30:31], v[44:45], v[40:41] op_sel:[0,1] op_sel_hi:[1,0] neg_lo:[0,1] neg_hi:[0,1]
	v_pk_add_f32 v[44:45], v[10:11], v[14:15]
	v_pk_add_f32 v[46:47], v[6:7], v[18:19] neg_lo:[0,1] neg_hi:[0,1]
	v_pk_fma_f32 v[44:45], v[44:45], 0.5, v[2:3] op_sel_hi:[1,0,1] neg_lo:[1,0,0] neg_hi:[1,0,0]
	v_pk_mul_f32 v[48:49], v[46:47], s[6:7] op_sel_hi:[1,0]
	v_pk_add_f32 v[52:53], v[10:11], v[14:15] neg_lo:[0,1] neg_hi:[0,1]
	s_movk_i32 s2, 0x48
	v_pk_add_f32 v[24:25], v[24:25], v[40:41] op_sel:[0,1] op_sel_hi:[1,0]
	v_pk_add_f32 v[50:51], v[44:45], v[48:49] op_sel:[0,1] op_sel_hi:[1,0]
	v_pk_mul_f32 v[54:55], v[52:53], s[8:9] op_sel_hi:[1,0]
	v_pk_add_f32 v[56:57], v[6:7], v[10:11] neg_lo:[0,1] neg_hi:[0,1]
	v_pk_add_f32 v[58:59], v[18:19], v[14:15] neg_lo:[0,1] neg_hi:[0,1]
	v_pk_add_f32 v[44:45], v[44:45], v[48:49] op_sel:[0,1] op_sel_hi:[1,0] neg_lo:[0,1] neg_hi:[0,1]
	v_mad_u32_u24 v29, v32, s2, v96
	s_mov_b32 s2, 0x3e9e377a
	v_mov_b32_e32 v40, v30
	v_mov_b32_e32 v41, v25
	v_pk_add_f32 v[50:51], v[54:55], v[50:51] op_sel:[1,0] op_sel_hi:[0,1]
	v_pk_add_f32 v[56:57], v[56:57], v[58:59]
	v_pk_add_f32 v[44:45], v[44:45], v[54:55] op_sel:[0,1] op_sel_hi:[1,0] neg_lo:[0,1] neg_hi:[0,1]
	v_pk_fma_f32 v[40:41], v[42:43], s[2:3], v[40:41] op_sel_hi:[1,0,1]
	v_pk_fma_f32 v[58:59], v[56:57], s[2:3], v[50:51] op_sel_hi:[1,0,1]
	s_mov_b32 s3, s8
	v_mov_b32_e32 v50, v44
	v_pk_fma_f32 v[48:49], v[56:57], s[2:3], v[50:51] op_sel_hi:[1,0,1]
	s_mov_b32 s10, 0x3f4f1bbd
	v_pk_mul_f32 v[50:51], v[48:49], s[8:9] op_sel_hi:[1,0]
	v_pk_add_f32 v[22:23], v[0:1], v[4:5]
	v_pk_fma_f32 v[54:55], v[48:49], s[10:11], v[50:51] op_sel:[0,0,1] op_sel_hi:[1,0,0] neg_lo:[0,0,1] neg_hi:[0,0,1]
	v_pk_fma_f32 v[48:49], v[48:49], s[10:11], v[50:51] op_sel:[0,0,1] op_sel_hi:[1,0,0]
	v_pk_add_f32 v[50:51], v[2:3], v[6:7]
	v_pk_add_f32 v[22:23], v[22:23], v[8:9]
	;; [unrolled: 1-line block ×7, first 2 shown]
	v_mov_b32_e32 v55, v49
	v_pk_add_f32 v[48:49], v[22:23], v[50:51]
	v_pk_add_f32 v[60:61], v[40:41], v[54:55]
	s_barrier
	ds_write2_b64 v29, v[48:49], v[60:61] offset1:1
	v_pk_add_f32 v[48:49], v[6:7], v[18:19]
	s_mov_b32 s10, s2
	v_fma_f32 v25, -0.5, v48, v2
	v_fma_f32 v30, -0.5, v49, v3
	v_pk_add_f32 v[2:3], v[4:5], v[16:17]
	v_mov_b32_e32 v48, v6
	v_pk_fma_f32 v[0:1], v[2:3], 0.5, v[0:1] op_sel_hi:[1,0,1] neg_lo:[1,0,0] neg_hi:[1,0,0]
	v_mov_b32_e32 v2, v10
	v_mov_b32_e32 v3, v14
	;; [unrolled: 1-line block ×3, first 2 shown]
	v_pk_add_f32 v[2:3], v[2:3], v[48:49] neg_lo:[0,1] neg_hi:[0,1]
	v_mov_b32_e32 v10, v11
	v_mov_b32_e32 v6, v3
	v_pk_add_f32 v[2:3], v[2:3], v[6:7]
	v_mov_b32_e32 v11, v15
	v_mov_b32_e32 v6, v7
	;; [unrolled: 1-line block ×3, first 2 shown]
	v_pk_add_f32 v[6:7], v[10:11], v[6:7] neg_lo:[0,1] neg_hi:[0,1]
	v_mov_b32_e32 v3, v47
	v_mov_b32_e32 v10, v7
	v_pk_add_f32 v[6:7], v[6:7], v[10:11]
	v_pk_mul_f32 v[2:3], v[2:3], s[2:3]
	v_fmamk_f32 v7, v53, 0x3f737871, v25
	v_sub_f32_e32 v7, v7, v3
	v_fmac_f32_e32 v25, 0xbf737871, v53
	v_add_f32_e32 v3, v3, v25
	v_add_f32_e32 v14, v2, v7
	v_mov_b32_e32 v7, v46
	v_add_f32_e32 v2, v2, v3
	v_fmamk_f32 v3, v52, 0xbf737871, v30
	v_pk_mul_f32 v[6:7], v[6:7], s[2:3]
	v_pk_add_f32 v[4:5], v[8:9], v[4:5] neg_lo:[0,1] neg_hi:[0,1]
	v_pk_add_f32 v[8:9], v[12:13], v[16:17] neg_lo:[0,1] neg_hi:[0,1]
	v_add_f32_e32 v3, v7, v3
	v_fmac_f32_e32 v30, 0x3f737871, v52
	v_pk_add_f32 v[4:5], v[4:5], v[8:9]
	v_pk_mul_f32 v[8:9], v[38:39], s[6:7] op_sel_hi:[1,0]
	v_add_f32_e32 v18, v6, v3
	v_sub_f32_e32 v3, v30, v7
	v_pk_mul_f32 v[12:13], v[26:27], s[8:9] op_sel_hi:[1,0]
	v_pk_add_f32 v[16:17], v[0:1], v[8:9] op_sel:[0,1] op_sel_hi:[1,0]
	s_mov_b32 s7, s2
	v_add_f32_e32 v6, v6, v3
	v_pk_add_f32 v[0:1], v[0:1], v[8:9] op_sel:[0,1] op_sel_hi:[1,0] neg_lo:[0,1] neg_hi:[0,1]
	v_pk_add_f32 v[8:9], v[16:17], v[12:13] op_sel:[0,1] op_sel_hi:[1,0] neg_lo:[0,1] neg_hi:[0,1]
	s_mov_b32 s11, s6
	v_pk_mul_f32 v[16:17], v[18:19], s[6:7] op_sel_hi:[0,1]
	v_pk_add_f32 v[0:1], v[0:1], v[12:13] op_sel:[0,1] op_sel_hi:[1,0]
	v_pk_fma_f32 v[18:19], v[14:15], s[10:11], v[16:17] neg_lo:[0,0,1] neg_hi:[0,0,1]
	v_pk_fma_f32 v[14:15], v[14:15], s[10:11], v[16:17] op_sel_hi:[0,1,1]
	s_mov_b32 s10, 0xbe9e377a
	v_pk_mul_f32 v[6:7], v[6:7], s[6:7] op_sel_hi:[0,1]
	v_mov_b32_e32 v12, v8
	v_mov_b32_e32 v13, v1
	v_pk_fma_f32 v[2:3], v[2:3], s[10:11], v[6:7] op_sel_hi:[0,1,1] neg_lo:[0,0,1] neg_hi:[0,0,1]
	v_mov_b32_e32 v1, v9
	s_mov_b32 s10, 0xbf4f1bbd
	v_pk_fma_f32 v[10:11], v[56:57], s[2:3], v[44:45] op_sel_hi:[1,0,1]
	v_pk_fma_f32 v[12:13], v[4:5], s[2:3], v[12:13] op_sel_hi:[1,0,1]
	v_mov_b32_e32 v19, v15
	v_pk_fma_f32 v[0:1], v[4:5], s[2:3], v[0:1] op_sel_hi:[1,0,1]
	s_mov_b32 s12, 0xbf167918
	s_mov_b32 s13, s10
	v_pk_add_f32 v[14:15], v[12:13], v[18:19]
	v_pk_add_f32 v[4:5], v[0:1], v[2:3]
	v_mov_b32_e32 v25, v31
	s_mov_b32 s11, s8
	v_pk_mul_f32 v[6:7], v[10:11], s[12:13] op_sel:[1,0]
	ds_write2_b64 v29, v[14:15], v[4:5] offset0:2 offset1:3
	v_pk_fma_f32 v[4:5], v[42:43], s[2:3], v[24:25] op_sel_hi:[1,0,1]
	v_pk_fma_f32 v[6:7], v[58:59], s[10:11], v[6:7] op_sel_hi:[0,1,1]
	v_pk_add_f32 v[8:9], v[4:5], v[6:7]
	v_pk_add_f32 v[10:11], v[22:23], v[50:51] neg_lo:[0,1] neg_hi:[0,1]
	v_pk_add_f32 v[0:1], v[0:1], v[2:3] neg_lo:[0,1] neg_hi:[0,1]
	;; [unrolled: 1-line block ×3, first 2 shown]
	s_movk_i32 s7, 0xcd
	ds_write2_b64 v29, v[8:9], v[10:11] offset0:4 offset1:5
	v_pk_add_f32 v[8:9], v[40:41], v[54:55] neg_lo:[0,1] neg_hi:[0,1]
	v_pk_add_f32 v[10:11], v[12:13], v[18:19] neg_lo:[0,1] neg_hi:[0,1]
	ds_write2_b64 v29, v[0:1], v[2:3] offset0:8 offset1:9
	v_mul_lo_u16_sdwa v0, v36, s7 dst_sel:DWORD dst_unused:UNUSED_PAD src0_sel:BYTE_0 src1_sel:DWORD
	ds_write2_b64 v29, v[8:9], v[10:11] offset0:6 offset1:7
	v_lshrrev_b16_e32 v29, 11, v0
	v_mul_lo_u16_e32 v0, 10, v29
	v_mov_b32_e32 v8, 5
	v_sub_u16_e32 v33, v36, v0
	v_lshlrev_b32_sdwa v9, v8, v33 dst_sel:DWORD dst_unused:UNUSED_PAD src0_sel:DWORD src1_sel:BYTE_0
	s_waitcnt lgkmcnt(0)
	s_barrier
	global_load_dwordx4 v[0:3], v9, s[4:5]
	global_load_dwordx4 v[4:7], v9, s[4:5] offset:16
	v_mul_lo_u16_sdwa v9, v32, s7 dst_sel:DWORD dst_unused:UNUSED_PAD src0_sel:BYTE_0 src1_sel:DWORD
	v_lshrrev_b16_e32 v37, 11, v9
	v_mul_lo_u16_e32 v9, 10, v37
	v_sub_u16_e32 v52, v32, v9
	v_lshlrev_b32_sdwa v16, v8, v52 dst_sel:DWORD dst_unused:UNUSED_PAD src0_sel:DWORD src1_sel:BYTE_0
	global_load_dwordx4 v[8:11], v16, s[4:5]
	global_load_dwordx4 v[12:15], v16, s[4:5] offset:16
	v_add_u32_e32 v16, 0x400, v96
	ds_read2_b64 v[16:19], v16 offset0:127 offset1:212
	ds_read2_b64 v[22:25], v96 offset1:170
	ds_read2_b64 v[38:41], v21 offset0:169 offset1:254
	ds_read2_b64 v[42:45], v28 offset0:83 offset1:168
	s_mov_b32 s9, s6
	s_waitcnt lgkmcnt(3)
	v_mov_b32_e32 v51, v17
	s_mov_b32 s7, s8
	v_lshl_add_u32 v97, v36, 3, 0
	s_waitcnt lgkmcnt(0)
	v_mov_b32_e32 v26, v43
	v_cmp_gt_u32_e32 vcc, 50, v32
	s_waitcnt vmcnt(3)
	v_pk_mul_f32 v[30:31], v[38:39], v[2:3]
	s_waitcnt vmcnt(2)
	v_pk_mul_f32 v[46:47], v[42:43], v[4:5]
	v_mov_b32_e32 v48, v30
	v_mov_b32_e32 v49, v46
	;; [unrolled: 1-line block ×3, first 2 shown]
	v_pk_add_f32 v[30:31], v[48:49], v[46:47]
	ds_read_b64 v[46:47], v96 offset:6120
	v_mul_f32_e32 v27, v1, v17
	v_fmac_f32_e32 v27, v0, v16
	v_pk_mul_f32 v[48:49], v[26:27], v[4:5]
	v_mov_b32_e32 v4, v5
	v_mov_b32_e32 v26, v7
	v_pk_mul_f32 v[4:5], v[42:43], v[4:5]
	s_waitcnt lgkmcnt(0)
	v_pk_mul_f32 v[42:43], v[46:47], v[26:27] op_sel:[1,0] op_sel_hi:[0,1]
	v_pk_fma_f32 v[42:43], v[46:47], v[6:7], v[42:43]
	v_pk_mul_f32 v[6:7], v[46:47], v[6:7] op_sel:[1,0] op_sel_hi:[0,1]
	v_mov_b32_e32 v46, v39
	v_mov_b32_e32 v47, v0
	;; [unrolled: 1-line block ×6, first 2 shown]
	v_pk_mul_f32 v[0:1], v[38:39], v[0:1]
	v_mov_b32_e32 v49, v6
	v_mov_b32_e32 v5, v7
	v_pk_fma_f32 v[0:1], v[46:47], v[50:51], v[0:1] neg_lo:[0,0,1] neg_hi:[0,0,1]
	v_pk_add_f32 v[2:3], v[48:49], v[4:5] neg_lo:[0,1] neg_hi:[0,1]
	v_sub_f32_e32 v5, v27, v30
	v_pk_add_f32 v[16:17], v[0:1], v[2:3] neg_lo:[0,1] neg_hi:[0,1]
	v_sub_f32_e32 v6, v42, v31
	v_pk_mul_f32 v[38:39], v[16:17], s[8:9]
	v_mov_b32_e32 v4, v31
	v_add_f32_e32 v38, v5, v6
	s_waitcnt vmcnt(1)
	v_pk_mul_f32 v[6:7], v[10:11], v[18:19] op_sel:[0,1]
	v_pk_add_f32 v[48:49], v[4:5], v[42:43] neg_lo:[0,1] neg_hi:[0,1]
	v_pk_fma_f32 v[46:47], v[10:11], v[18:19], v[6:7] op_sel:[0,0,1] op_sel_hi:[1,1,0]
	v_pk_fma_f32 v[6:7], v[10:11], v[18:19], v[6:7] op_sel:[0,0,1] op_sel_hi:[1,0,0] neg_lo:[1,0,0] neg_hi:[1,0,0]
	v_pk_mul_f32 v[10:11], v[8:9], v[24:25] op_sel:[0,1]
	v_mov_b32_e32 v47, v7
	v_pk_fma_f32 v[18:19], v[8:9], v[24:25], v[10:11] op_sel:[0,0,1] op_sel_hi:[1,1,0]
	v_pk_fma_f32 v[8:9], v[8:9], v[24:25], v[10:11] op_sel:[0,0,1] op_sel_hi:[1,0,0] neg_lo:[1,0,0] neg_hi:[1,0,0]
	v_pk_add_f32 v[10:11], v[30:31], v[4:5] neg_lo:[0,1] neg_hi:[0,1]
	s_waitcnt vmcnt(0)
	v_pk_mul_f32 v[4:5], v[12:13], v[40:41] op_sel:[0,1]
	v_mov_b32_e32 v19, v9
	v_pk_fma_f32 v[8:9], v[12:13], v[40:41], v[4:5] op_sel:[0,0,1] op_sel_hi:[1,1,0]
	v_pk_fma_f32 v[4:5], v[12:13], v[40:41], v[4:5] op_sel:[0,0,1] op_sel_hi:[1,0,0] neg_lo:[1,0,0] neg_hi:[1,0,0]
	v_pk_add_f32 v[6:7], v[46:47], v[18:19] neg_lo:[0,1] neg_hi:[0,1]
	v_mov_b32_e32 v9, v5
	v_pk_mul_f32 v[4:5], v[14:15], v[44:45] op_sel:[0,1]
	v_pk_add_f32 v[40:41], v[46:47], v[8:9] neg_lo:[0,1] neg_hi:[0,1]
	v_pk_fma_f32 v[12:13], v[14:15], v[44:45], v[4:5] op_sel:[0,0,1] op_sel_hi:[1,1,0]
	v_pk_fma_f32 v[4:5], v[14:15], v[44:45], v[4:5] op_sel:[0,0,1] op_sel_hi:[1,0,0] neg_lo:[1,0,0] neg_hi:[1,0,0]
	v_mov_b32_e32 v25, 3
	v_mov_b32_e32 v13, v5
	v_pk_add_f32 v[4:5], v[18:19], v[12:13]
	v_pk_add_f32 v[44:45], v[8:9], v[12:13] neg_lo:[0,1] neg_hi:[0,1]
	v_pk_fma_f32 v[4:5], v[4:5], 0.5, v[22:23] op_sel_hi:[1,0,1] neg_lo:[1,0,0] neg_hi:[1,0,0]
	v_pk_add_f32 v[14:15], v[18:19], v[12:13] neg_lo:[0,1] neg_hi:[0,1]
	v_pk_add_f32 v[6:7], v[6:7], v[44:45]
	v_pk_fma_f32 v[44:45], v[40:41], s[6:7], v[4:5] op_sel:[1,0,0] op_sel_hi:[0,0,1]
	v_pk_fma_f32 v[4:5], v[40:41], s[6:7], v[4:5] op_sel:[1,0,0] op_sel_hi:[0,0,1] neg_lo:[1,0,0] neg_hi:[1,0,0]
	v_pk_fma_f32 v[50:51], v[14:15], s[8:9], v[4:5] op_sel:[1,0,0] op_sel_hi:[0,0,1]
	v_pk_fma_f32 v[4:5], v[14:15], s[8:9], v[44:45] op_sel:[1,0,0] op_sel_hi:[0,0,1] neg_lo:[1,0,0] neg_hi:[1,0,0]
	v_mov_b32_e32 v44, v4
	v_mov_b32_e32 v45, v51
	;; [unrolled: 1-line block ×3, first 2 shown]
	v_pk_fma_f32 v[4:5], v[6:7], s[2:3], v[44:45] op_sel_hi:[1,0,1]
	v_pk_fma_f32 v[6:7], v[6:7], s[2:3], v[50:51] op_sel_hi:[1,0,1]
	v_mov_b32_e32 v44, v1
	v_mov_b32_e32 v45, v3
	;; [unrolled: 1-line block ×4, first 2 shown]
	v_pk_add_f32 v[44:45], v[44:45], v[50:51] neg_lo:[0,1] neg_hi:[0,1]
	v_mul_u32_u24_e32 v11, 0x190, v37
	v_mov_b32_e32 v26, v45
	v_pk_add_f32 v[44:45], v[44:45], v[26:27]
	v_mov_b32_e32 v26, v1
	v_pk_add_f32 v[50:51], v[0:1], v[26:27] neg_lo:[0,1] neg_hi:[0,1]
	v_lshlrev_b32_sdwa v26, v25, v52 dst_sel:DWORD dst_unused:UNUSED_PAD src0_sel:DWORD src1_sel:BYTE_0
	v_add3_u32 v37, 0, v11, v26
	v_mov_b32_e32 v26, v3
	v_pk_add_f32 v[52:53], v[2:3], v[26:27] neg_lo:[0,1] neg_hi:[0,1]
	v_mov_b32_e32 v26, v50
	v_pk_add_f32 v[50:51], v[50:51], v[52:53]
	v_mov_b32_e32 v53, v42
	v_sub_f32_e32 v24, v30, v27
	v_pk_add_f32 v[52:53], v[26:27], v[52:53] neg_lo:[0,1] neg_hi:[0,1]
	v_mov_b32_e32 v26, v27
	v_mov_b32_e32 v27, v1
	;; [unrolled: 1-line block ×7, first 2 shown]
	v_pk_add_f32 v[0:1], v[46:47], v[8:9]
	v_pk_add_f32 v[2:3], v[22:23], v[18:19]
	v_pk_fma_f32 v[0:1], v[0:1], 0.5, v[22:23] op_sel_hi:[1,0,1] neg_lo:[1,0,0] neg_hi:[1,0,0]
	v_pk_add_f32 v[2:3], v[2:3], v[46:47]
	v_pk_add_f32 v[22:23], v[12:13], v[8:9] neg_lo:[0,1] neg_hi:[0,1]
	v_mov_b32_e32 v45, v10
	v_mul_f32_e32 v57, 0x3f737871, v10
	v_pk_add_f32 v[2:3], v[2:3], v[8:9]
	v_pk_fma_f32 v[8:9], v[14:15], s[6:7], v[0:1] op_sel:[1,0,0] op_sel_hi:[0,0,1] neg_lo:[1,0,0] neg_hi:[1,0,0]
	v_pk_fma_f32 v[10:11], v[14:15], s[6:7], v[0:1] op_sel:[1,0,0] op_sel_hi:[0,0,1]
	ds_read_b64 v[14:15], v97
	v_pk_fma_f32 v[10:11], v[40:41], s[8:9], v[10:11] op_sel:[1,0,0] op_sel_hi:[0,0,1]
	v_pk_fma_f32 v[8:9], v[40:41], s[8:9], v[8:9] op_sel:[1,0,0] op_sel_hi:[0,0,1] neg_lo:[1,0,0] neg_hi:[1,0,0]
	v_pk_add_f32 v[0:1], v[2:3], v[12:13]
	v_mov_b32_e32 v2, v8
	v_mov_b32_e32 v3, v11
	;; [unrolled: 1-line block ×3, first 2 shown]
	s_waitcnt lgkmcnt(0)
	v_pk_add_f32 v[8:9], v[14:15], v[26:27]
	v_lshlrev_b32_sdwa v25, v25, v33 dst_sel:DWORD dst_unused:UNUSED_PAD src0_sel:DWORD src1_sel:BYTE_0
	v_pk_add_f32 v[8:9], v[8:9], v[54:55]
	v_pk_add_f32 v[18:19], v[18:19], v[46:47] neg_lo:[0,1] neg_hi:[0,1]
	v_pk_add_f32 v[40:41], v[8:9], v[30:31]
	v_mul_u32_u24_e32 v12, 0x190, v29
	v_pk_add_f32 v[30:31], v[54:55], v[30:31]
	v_pk_add_f32 v[18:19], v[18:19], v[22:23]
	v_mul_f32_e32 v13, 0x3f737871, v53
	v_add3_u32 v29, 0, v12, v25
	v_pk_fma_f32 v[30:31], v[30:31], 0.5, v[14:15] op_sel_hi:[1,0,1] neg_lo:[1,0,0] neg_hi:[1,0,0]
	v_mov_b32_e32 v12, v39
	v_pk_fma_f32 v[8:9], v[18:19], s[2:3], v[10:11] op_sel_hi:[1,0,1]
	v_pk_add_f32 v[10:11], v[40:41], v[42:43]
	v_pk_add_f32 v[40:41], v[30:31], v[12:13]
	v_pk_add_f32 v[54:55], v[30:31], v[12:13] neg_lo:[0,1] neg_hi:[0,1]
	v_pk_add_f32 v[12:13], v[30:31], v[12:13]
	v_pk_fma_f32 v[54:55], v[16:17], s[8:9], v[54:55] neg_lo:[1,0,0] neg_hi:[1,0,0]
	v_pk_fma_f32 v[12:13], v[44:45], s[2:3], v[12:13]
	v_pk_mul_f32 v[22:23], v[16:17], s[6:7]
	v_mov_b32_e32 v55, v13
	v_pk_add_f32 v[12:13], v[26:27], v[42:43]
	v_mov_b32_e32 v51, v53
	v_pk_fma_f32 v[12:13], v[12:13], 0.5, v[14:15] op_sel_hi:[1,0,1] neg_lo:[1,0,0] neg_hi:[1,0,0]
	v_pk_fma_f32 v[2:3], v[18:19], s[2:3], v[2:3] op_sel_hi:[1,0,1]
	v_pk_mul_f32 v[18:19], v[50:51], s[2:3]
	v_pk_fma_f32 v[14:15], v[16:17], s[6:7], v[12:13] neg_lo:[1,0,0] neg_hi:[1,0,0]
	v_mov_b32_e32 v26, v23
	v_mov_b32_e32 v56, v22
	v_pk_fma_f32 v[40:41], v[16:17], s[8:9], v[40:41]
	v_pk_add_f32 v[26:27], v[26:27], v[14:15]
	v_pk_fma_f32 v[14:15], v[16:17], s[6:7], v[12:13]
	v_pk_add_f32 v[16:17], v[12:13], v[56:57] neg_lo:[0,1] neg_hi:[0,1]
	v_mov_b32_e32 v22, v23
	v_mov_b32_e32 v23, v19
	v_mov_b32_e32 v25, v57
	v_mov_b32_e32 v49, v13
	v_pk_add_f32 v[14:15], v[14:15], v[22:23] neg_lo:[0,1] neg_hi:[0,1]
	v_pk_fma_f32 v[16:17], v[50:51], s[2:3], v[16:17]
	v_pk_add_f32 v[12:13], v[24:25], v[48:49]
	v_mov_b32_e32 v22, 0x3e9e377a
	v_pk_mul_f32 v[46:47], v[44:45], s[2:3]
	v_fmac_f32_e32 v31, 0xbf737871, v53
	v_mov_b32_e32 v15, v17
	v_pk_mul_f32 v[16:17], v[12:13], v[22:23]
	v_pk_fma_f32 v[12:13], v[50:51], s[2:3], v[12:13] neg_lo:[1,0,0] neg_hi:[1,0,0]
	v_mov_b32_e32 v39, v31
	v_mov_b32_e32 v17, v13
	;; [unrolled: 1-line block ×5, first 2 shown]
	v_pk_add_f32 v[14:15], v[12:13], v[14:15]
	v_mov_b32_e32 v27, v18
	v_pk_mul_f32 v[18:19], v[38:39], v[22:23]
	v_pk_fma_f32 v[12:13], v[44:45], s[2:3], v[38:39] neg_lo:[1,0,0] neg_hi:[1,0,0]
	v_mov_b32_e32 v41, v46
	v_mov_b32_e32 v19, v13
	;; [unrolled: 1-line block ×4, first 2 shown]
	v_pk_add_f32 v[16:17], v[26:27], v[16:17]
	v_pk_add_f32 v[12:13], v[12:13], v[54:55]
	;; [unrolled: 1-line block ×3, first 2 shown]
	s_barrier
	ds_write2_b64 v37, v[0:1], v[2:3] offset1:10
	ds_write2_b64 v37, v[4:5], v[6:7] offset0:20 offset1:30
	ds_write_b64 v37, v[8:9] offset:320
	ds_write2_b64 v29, v[14:15], v[16:17] offset0:20 offset1:30
	ds_write2_b64 v29, v[10:11], v[12:13] offset1:10
	ds_write_b64 v29, v[18:19] offset:320
	s_waitcnt lgkmcnt(0)
	s_barrier
	s_waitcnt lgkmcnt(0)
                                        ; implicit-def: $vgpr39
                                        ; implicit-def: $vgpr31
                                        ; implicit-def: $vgpr27
                                        ; implicit-def: $vgpr23
	s_and_saveexec_b64 s[2:3], vcc
	s_cbranch_execz .LBB0_15
; %bb.14:
	ds_read2_b64 v[0:3], v96 offset1:50
	ds_read2_b64 v[4:7], v96 offset0:100 offset1:150
	ds_read2_b64 v[8:11], v96 offset0:200 offset1:250
	;; [unrolled: 1-line block ×7, first 2 shown]
	ds_read_b64 v[38:39], v96 offset:6400
.LBB0_15:
	s_or_b64 exec, exec, s[2:3]
	s_waitcnt lgkmcnt(0)
	s_barrier
	s_and_saveexec_b64 s[2:3], vcc
	s_cbranch_execz .LBB0_17
; %bb.16:
	v_lshlrev_b32_e32 v33, 4, v32
	v_add_u32_e32 v37, 0xfffffce0, v33
	v_cndmask_b32_e32 v40, v37, v33, vcc
	v_mov_b32_e32 v41, 0
	v_lshl_add_u64 v[72:73], v[40:41], 3, s[4:5]
	global_load_dwordx4 v[40:43], v[72:73], off offset:432
	global_load_dwordx4 v[44:47], v[72:73], off offset:416
	;; [unrolled: 1-line block ×8, first 2 shown]
	v_mov_b32_e32 v72, v39
	v_mov_b32_e32 v74, v31
	;; [unrolled: 1-line block ×18, first 2 shown]
	s_mov_b32 s8, 0xbf4c4adb
	s_mov_b32 s6, 0xbf1a4643
	;; [unrolled: 1-line block ×20, first 2 shown]
	v_add_u32_e32 v33, 0x800, v96
	s_mov_b32 s44, 0x3eb8f4ab
	s_mov_b32 s50, 0xbf65296c
	s_waitcnt vmcnt(7)
	v_pk_mul_f32 v[72:73], v[72:73], v[42:43] op_sel_hi:[0,1]
	v_pk_mul_f32 v[74:75], v[74:75], v[40:41] op_sel_hi:[0,1]
	s_waitcnt vmcnt(6)
	v_pk_mul_f32 v[76:77], v[76:77], v[46:47] op_sel_hi:[0,1]
	v_pk_mul_f32 v[78:79], v[78:79], v[44:45] op_sel_hi:[0,1]
	s_waitcnt vmcnt(3)
	v_pk_mul_f32 v[110:111], v[16:17], v[58:59] op_sel_hi:[0,1]
	v_mov_b32_e32 v112, v59
	v_mov_b32_e32 v113, v58
	s_waitcnt vmcnt(2)
	v_pk_mul_f32 v[6:7], v[6:7], v[60:61] op_sel_hi:[0,1]
	v_pk_mul_f32 v[58:59], v[98:99], v[62:63] op_sel_hi:[0,1]
	s_waitcnt vmcnt(1)
	v_pk_mul_f32 v[98:99], v[100:101], v[64:65] op_sel_hi:[0,1]
	v_pk_mul_f32 v[100:101], v[102:103], v[66:67] op_sel_hi:[0,1]
	;; [unrolled: 3-line block ×3, first 2 shown]
	v_pk_mul_f32 v[106:107], v[108:109], v[56:57] op_sel_hi:[0,1]
	v_pk_fma_f32 v[16:17], v[38:39], v[42:43], v[72:73] op_sel:[0,0,1] op_sel_hi:[1,1,0]
	v_pk_fma_f32 v[72:73], v[38:39], v[42:43], v[72:73] op_sel:[0,0,1] op_sel_hi:[0,1,0] neg_lo:[1,0,0] neg_hi:[1,0,0]
	v_pk_fma_f32 v[38:39], v[30:31], v[40:41], v[74:75] op_sel:[0,0,1] op_sel_hi:[1,1,0]
	v_pk_fma_f32 v[74:75], v[30:31], v[40:41], v[74:75] op_sel:[0,0,1] op_sel_hi:[0,1,0] neg_lo:[1,0,0] neg_hi:[1,0,0]
	;; [unrolled: 2-line block ×8, first 2 shown]
	v_mov_b32_e32 v41, v7
	v_mov_b32_e32 v11, v13
	v_pk_fma_f32 v[12:13], v[14:15], v[56:57], v[106:107] op_sel:[0,0,1] op_sel_hi:[1,1,0]
	v_pk_fma_f32 v[6:7], v[14:15], v[56:57], v[106:107] op_sel:[0,0,1] op_sel_hi:[0,1,0] neg_lo:[1,0,0] neg_hi:[1,0,0]
	v_pk_fma_f32 v[14:15], v[2:3], v[68:69], v[102:103] op_sel:[0,0,1] op_sel_hi:[1,1,0]
	v_pk_fma_f32 v[2:3], v[2:3], v[68:69], v[102:103] op_sel:[0,0,1] op_sel_hi:[0,1,0] neg_lo:[1,0,0] neg_hi:[1,0,0]
	v_pk_mul_f32 v[80:81], v[80:81], v[50:51] op_sel_hi:[0,1]
	v_pk_mul_f32 v[82:83], v[82:83], v[48:49] op_sel_hi:[0,1]
	v_mov_b32_e32 v17, v73
	v_mov_b32_e32 v31, v47
	;; [unrolled: 1-line block ×3, first 2 shown]
	v_pk_fma_f32 v[46:47], v[4:5], v[70:71], v[104:105] op_sel:[0,0,1] op_sel_hi:[1,1,0]
	v_pk_fma_f32 v[2:3], v[4:5], v[70:71], v[104:105] op_sel:[0,0,1] op_sel_hi:[0,1,0] neg_lo:[1,0,0] neg_hi:[1,0,0]
	v_pk_fma_f32 v[26:27], v[24:25], v[50:51], v[80:81] op_sel:[0,0,1] op_sel_hi:[1,1,0]
	v_pk_fma_f32 v[50:51], v[24:25], v[50:51], v[80:81] op_sel:[0,0,1] op_sel_hi:[0,1,0] neg_lo:[1,0,0] neg_hi:[1,0,0]
	;; [unrolled: 2-line block ×3, first 2 shown]
	v_mov_b32_e32 v39, v75
	v_mov_b32_e32 v43, v9
	;; [unrolled: 1-line block ×3, first 2 shown]
	v_pk_add_f32 v[8:9], v[14:15], v[16:17] neg_lo:[0,1] neg_hi:[0,1]
	v_pk_mul_f32 v[84:85], v[84:85], v[54:55] op_sel_hi:[0,1]
	v_pk_mul_f32 v[86:87], v[86:87], v[52:53] op_sel_hi:[0,1]
	v_mov_b32_e32 v25, v49
	v_mov_b32_e32 v13, v7
	v_pk_add_f32 v[4:5], v[14:15], v[16:17]
	v_pk_add_f32 v[6:7], v[46:47], v[38:39] neg_lo:[0,1] neg_hi:[0,1]
	v_pk_mul_f32 v[48:49], v[8:9], s[8:9] op_sel_hi:[1,0]
	v_pk_fma_f32 v[22:23], v[20:21], v[54:55], v[84:85] op_sel:[0,0,1] op_sel_hi:[1,1,0]
	v_pk_fma_f32 v[54:55], v[20:21], v[54:55], v[84:85] op_sel:[0,0,1] op_sel_hi:[0,1,0] neg_lo:[1,0,0] neg_hi:[1,0,0]
	v_pk_fma_f32 v[20:21], v[18:19], v[52:53], v[86:87] op_sel:[0,0,1] op_sel_hi:[1,1,0]
	v_pk_fma_f32 v[52:53], v[18:19], v[52:53], v[86:87] op_sel:[0,0,1] op_sel_hi:[0,1,0] neg_lo:[1,0,0] neg_hi:[1,0,0]
	v_pk_fma_f32 v[18:19], v[88:89], v[112:113], v[110:111]
	v_pk_fma_f32 v[78:79], v[90:91], v[112:113], v[110:111] op_sel_hi:[0,1,1] neg_lo:[0,0,1] neg_hi:[0,0,1]
	v_mov_b32_e32 v27, v51
	v_pk_add_f32 v[2:3], v[46:47], v[38:39]
	v_pk_fma_f32 v[72:73], v[4:5], s[6:7], v[48:49] op_sel:[0,0,1] op_sel_hi:[1,0,0]
	v_pk_fma_f32 v[74:75], v[4:5], s[6:7], v[48:49] op_sel:[0,0,1] op_sel_hi:[1,0,0] neg_lo:[0,0,1] neg_hi:[0,0,1]
	v_pk_mul_f32 v[50:51], v[6:7], s[12:13] op_sel_hi:[1,0]
	v_mov_b32_e32 v29, v77
	v_mov_b32_e32 v19, v79
	;; [unrolled: 1-line block ×4, first 2 shown]
	v_pk_fma_f32 v[76:77], v[2:3], s[10:11], v[50:51] op_sel:[0,0,1] op_sel_hi:[1,0,0]
	v_pk_fma_f32 v[78:79], v[2:3], s[10:11], v[50:51] op_sel:[0,0,1] op_sel_hi:[1,0,0] neg_lo:[0,0,1] neg_hi:[0,0,1]
	v_pk_add_f32 v[48:49], v[0:1], v[48:49]
	v_mov_b32_e32 v50, v76
	v_mov_b32_e32 v51, v79
	v_mov_b32_e32 v21, v53
	v_pk_add_f32 v[52:53], v[50:51], v[48:49]
	v_pk_add_f32 v[50:51], v[40:41], v[30:31] neg_lo:[0,1] neg_hi:[0,1]
	v_mov_b32_e32 v23, v55
	v_pk_add_f32 v[48:49], v[40:41], v[30:31]
	v_pk_mul_f32 v[54:55], v[50:51], s[16:17] op_sel_hi:[1,0]
	v_mov_b32_e32 v45, v59
	v_pk_fma_f32 v[80:81], v[48:49], s[14:15], v[54:55] op_sel:[0,0,1] op_sel_hi:[1,0,0]
	v_pk_fma_f32 v[82:83], v[48:49], s[14:15], v[54:55] op_sel:[0,0,1] op_sel_hi:[1,0,0] neg_lo:[0,0,1] neg_hi:[0,0,1]
	v_mov_b32_e32 v54, v80
	v_mov_b32_e32 v55, v83
	v_pk_add_f32 v[56:57], v[54:55], v[52:53]
	v_pk_add_f32 v[54:55], v[42:43], v[28:29] neg_lo:[0,1] neg_hi:[0,1]
	v_pk_add_f32 v[52:53], v[42:43], v[28:29]
	v_pk_mul_f32 v[58:59], v[54:55], s[30:31] op_sel_hi:[1,0]
	v_pk_mul_f32 v[114:115], v[6:7], s[46:47] op_sel_hi:[1,0]
	v_pk_fma_f32 v[84:85], v[52:53], s[22:23], v[58:59] op_sel:[0,0,1] op_sel_hi:[1,0,0]
	v_pk_fma_f32 v[86:87], v[52:53], s[22:23], v[58:59] op_sel:[0,0,1] op_sel_hi:[1,0,0] neg_lo:[0,0,1] neg_hi:[0,0,1]
	v_mov_b32_e32 v58, v84
	v_mov_b32_e32 v59, v87
	v_pk_add_f32 v[60:61], v[58:59], v[56:57]
	v_pk_add_f32 v[58:59], v[44:45], v[26:27] neg_lo:[0,1] neg_hi:[0,1]
	v_pk_add_f32 v[56:57], v[44:45], v[26:27]
	v_pk_mul_f32 v[62:63], v[58:59], s[20:21] op_sel_hi:[1,0]
	v_pk_fma_f32 v[116:117], v[2:3], s[34:35], v[114:115] op_sel:[0,0,1] op_sel_hi:[1,0,0]
	v_pk_fma_f32 v[88:89], v[56:57], s[18:19], v[62:63] op_sel:[0,0,1] op_sel_hi:[1,0,0]
	v_pk_fma_f32 v[90:91], v[56:57], s[18:19], v[62:63] op_sel:[0,0,1] op_sel_hi:[1,0,0] neg_lo:[0,0,1] neg_hi:[0,0,1]
	v_mov_b32_e32 v62, v88
	v_mov_b32_e32 v63, v91
	v_pk_add_f32 v[64:65], v[62:63], v[60:61]
	v_pk_add_f32 v[62:63], v[10:11], v[24:25] neg_lo:[0,1] neg_hi:[0,1]
	v_pk_add_f32 v[60:61], v[10:11], v[24:25]
	v_pk_mul_f32 v[66:67], v[62:63], s[48:49] op_sel_hi:[1,0]
	v_pk_fma_f32 v[114:115], v[2:3], s[34:35], v[114:115] op_sel:[0,0,1] op_sel_hi:[1,0,0] neg_lo:[0,0,1] neg_hi:[0,0,1]
	v_pk_fma_f32 v[92:93], v[60:61], s[26:27], v[66:67] op_sel:[0,0,1] op_sel_hi:[1,0,0]
	v_pk_fma_f32 v[94:95], v[60:61], s[26:27], v[66:67] op_sel:[0,0,1] op_sel_hi:[1,0,0] neg_lo:[0,0,1] neg_hi:[0,0,1]
	v_mov_b32_e32 v66, v92
	v_mov_b32_e32 v67, v95
	v_pk_add_f32 v[68:69], v[66:67], v[64:65]
	v_pk_add_f32 v[66:67], v[12:13], v[22:23] neg_lo:[0,1] neg_hi:[0,1]
	v_pk_add_f32 v[64:65], v[12:13], v[22:23]
	v_pk_mul_f32 v[70:71], v[66:67], s[28:29] op_sel_hi:[1,0]
	v_mov_b32_e32 v118, v116
	v_pk_fma_f32 v[98:99], v[64:65], s[24:25], v[70:71] op_sel:[0,0,1] op_sel_hi:[1,0,0]
	v_pk_fma_f32 v[100:101], v[64:65], s[24:25], v[70:71] op_sel:[0,0,1] op_sel_hi:[1,0,0] neg_lo:[0,0,1] neg_hi:[0,0,1]
	v_mov_b32_e32 v70, v98
	v_mov_b32_e32 v71, v101
	v_pk_add_f32 v[102:103], v[70:71], v[68:69]
	v_pk_add_f32 v[70:71], v[18:19], v[20:21] neg_lo:[0,1] neg_hi:[0,1]
	v_pk_add_f32 v[68:69], v[18:19], v[20:21]
	v_pk_mul_f32 v[104:105], v[70:71], s[46:47] op_sel_hi:[1,0]
	v_mov_b32_e32 v119, v115
	v_pk_fma_f32 v[106:107], v[68:69], s[34:35], v[104:105] op_sel:[0,0,1] op_sel_hi:[1,0,0]
	v_pk_fma_f32 v[104:105], v[68:69], s[34:35], v[104:105] op_sel:[0,0,1] op_sel_hi:[1,0,0] neg_lo:[0,0,1] neg_hi:[0,0,1]
	v_mov_b32_e32 v108, v106
	v_mov_b32_e32 v109, v105
	v_pk_add_f32 v[102:103], v[108:109], v[102:103]
	v_pk_mul_f32 v[108:109], v[8:9], s[30:31] op_sel_hi:[1,0]
	v_pk_mul_f32 v[144:145], v[6:7], s[44:45] op_sel_hi:[1,0]
	v_pk_fma_f32 v[110:111], v[4:5], s[22:23], v[108:109] op_sel:[0,0,1] op_sel_hi:[1,0,0]
	v_pk_fma_f32 v[108:109], v[4:5], s[22:23], v[108:109] op_sel:[0,0,1] op_sel_hi:[1,0,0] neg_lo:[0,0,1] neg_hi:[0,0,1]
	v_mov_b32_e32 v112, v110
	v_mov_b32_e32 v113, v109
	v_pk_add_f32 v[112:113], v[0:1], v[112:113]
	v_pk_fma_f32 v[146:147], v[2:3], s[14:15], v[144:145] op_sel:[0,0,1] op_sel_hi:[1,0,0]
	v_pk_add_f32 v[112:113], v[118:119], v[112:113]
	v_pk_mul_f32 v[118:119], v[50:51], s[42:43] op_sel_hi:[1,0]
	v_pk_fma_f32 v[144:145], v[2:3], s[14:15], v[144:145] op_sel:[0,0,1] op_sel_hi:[1,0,0] neg_lo:[0,0,1] neg_hi:[0,0,1]
	v_pk_fma_f32 v[120:121], v[48:49], s[18:19], v[118:119] op_sel:[0,0,1] op_sel_hi:[1,0,0]
	v_pk_fma_f32 v[118:119], v[48:49], s[18:19], v[118:119] op_sel:[0,0,1] op_sel_hi:[1,0,0] neg_lo:[0,0,1] neg_hi:[0,0,1]
	v_mov_b32_e32 v122, v120
	v_mov_b32_e32 v123, v119
	v_pk_add_f32 v[112:113], v[122:123], v[112:113]
	v_pk_mul_f32 v[122:123], v[54:55], s[38:39] op_sel_hi:[1,0]
	v_mov_b32_e32 v148, v146
	v_pk_fma_f32 v[124:125], v[52:53], s[6:7], v[122:123] op_sel:[0,0,1] op_sel_hi:[1,0,0]
	v_pk_fma_f32 v[122:123], v[52:53], s[6:7], v[122:123] op_sel:[0,0,1] op_sel_hi:[1,0,0] neg_lo:[0,0,1] neg_hi:[0,0,1]
	v_mov_b32_e32 v126, v124
	v_mov_b32_e32 v127, v123
	v_pk_add_f32 v[112:113], v[126:127], v[112:113]
	v_pk_mul_f32 v[126:127], v[58:59], s[16:17] op_sel_hi:[1,0]
	v_mov_b32_e32 v149, v145
	v_pk_fma_f32 v[128:129], v[56:57], s[14:15], v[126:127] op_sel:[0,0,1] op_sel_hi:[1,0,0]
	v_pk_fma_f32 v[126:127], v[56:57], s[14:15], v[126:127] op_sel:[0,0,1] op_sel_hi:[1,0,0] neg_lo:[0,0,1] neg_hi:[0,0,1]
	v_mov_b32_e32 v130, v128
	v_mov_b32_e32 v131, v127
	v_pk_add_f32 v[112:113], v[130:131], v[112:113]
	v_pk_mul_f32 v[130:131], v[62:63], s[28:29] op_sel_hi:[1,0]
	v_mov_b32_e32 v145, v147
	v_pk_fma_f32 v[132:133], v[60:61], s[24:25], v[130:131] op_sel:[0,0,1] op_sel_hi:[1,0,0]
	v_pk_fma_f32 v[130:131], v[60:61], s[24:25], v[130:131] op_sel:[0,0,1] op_sel_hi:[1,0,0] neg_lo:[0,0,1] neg_hi:[0,0,1]
	v_mov_b32_e32 v134, v132
	v_mov_b32_e32 v135, v131
	v_pk_add_f32 v[112:113], v[134:135], v[112:113]
	v_pk_mul_f32 v[134:135], v[66:67], s[36:37] op_sel_hi:[1,0]
	v_mov_b32_e32 v109, v111
	v_pk_fma_f32 v[136:137], v[64:65], s[26:27], v[134:135] op_sel:[0,0,1] op_sel_hi:[1,0,0]
	v_pk_fma_f32 v[134:135], v[64:65], s[26:27], v[134:135] op_sel:[0,0,1] op_sel_hi:[1,0,0] neg_lo:[0,0,1] neg_hi:[0,0,1]
	v_mov_b32_e32 v138, v136
	v_mov_b32_e32 v139, v135
	v_pk_add_f32 v[112:113], v[138:139], v[112:113]
	v_pk_mul_f32 v[138:139], v[70:71], s[40:41] op_sel_hi:[1,0]
	v_mov_b32_e32 v75, v73
	v_pk_fma_f32 v[140:141], v[68:69], s[10:11], v[138:139] op_sel:[0,0,1] op_sel_hi:[1,0,0]
	v_pk_fma_f32 v[138:139], v[68:69], s[10:11], v[138:139] op_sel:[0,0,1] op_sel_hi:[1,0,0] neg_lo:[0,0,1] neg_hi:[0,0,1]
	v_mov_b32_e32 v142, v140
	v_mov_b32_e32 v143, v139
	v_pk_add_f32 v[112:113], v[142:143], v[112:113]
	ds_write2_b64 v33, v[102:103], v[112:113] offset0:44 offset1:94
	v_pk_mul_f32 v[102:103], v[8:9], s[28:29] op_sel_hi:[1,0]
	v_mov_b32_e32 v115, v117
	v_pk_fma_f32 v[112:113], v[4:5], s[24:25], v[102:103] op_sel:[0,0,1] op_sel_hi:[1,0,0]
	v_pk_fma_f32 v[102:103], v[4:5], s[24:25], v[102:103] op_sel:[0,0,1] op_sel_hi:[1,0,0] neg_lo:[0,0,1] neg_hi:[0,0,1]
	v_mov_b32_e32 v142, v112
	v_mov_b32_e32 v143, v103
	v_pk_add_f32 v[142:143], v[0:1], v[142:143]
	v_mov_b32_e32 v103, v113
	v_pk_add_f32 v[142:143], v[148:149], v[142:143]
	v_pk_mul_f32 v[148:149], v[50:51], s[30:31] op_sel_hi:[1,0]
	v_pk_add_f32 v[102:103], v[0:1], v[102:103]
	v_pk_fma_f32 v[150:151], v[48:49], s[22:23], v[148:149] op_sel:[0,0,1] op_sel_hi:[1,0,0]
	v_pk_fma_f32 v[148:149], v[48:49], s[22:23], v[148:149] op_sel:[0,0,1] op_sel_hi:[1,0,0] neg_lo:[0,0,1] neg_hi:[0,0,1]
	v_mov_b32_e32 v152, v150
	v_mov_b32_e32 v153, v149
	v_pk_add_f32 v[142:143], v[152:153], v[142:143]
	v_pk_mul_f32 v[152:153], v[54:55], s[36:37] op_sel_hi:[1,0]
	v_pk_add_f32 v[102:103], v[144:145], v[102:103]
	v_pk_fma_f32 v[154:155], v[52:53], s[26:27], v[152:153] op_sel:[0,0,1] op_sel_hi:[1,0,0]
	v_pk_fma_f32 v[152:153], v[52:53], s[26:27], v[152:153] op_sel:[0,0,1] op_sel_hi:[1,0,0] neg_lo:[0,0,1] neg_hi:[0,0,1]
	v_mov_b32_e32 v156, v154
	v_mov_b32_e32 v157, v153
	v_pk_add_f32 v[142:143], v[156:157], v[142:143]
	v_pk_mul_f32 v[156:157], v[58:59], s[8:9] op_sel_hi:[1,0]
	v_mov_b32_e32 v149, v151
	v_pk_fma_f32 v[158:159], v[56:57], s[6:7], v[156:157] op_sel:[0,0,1] op_sel_hi:[1,0,0]
	v_pk_fma_f32 v[156:157], v[56:57], s[6:7], v[156:157] op_sel:[0,0,1] op_sel_hi:[1,0,0] neg_lo:[0,0,1] neg_hi:[0,0,1]
	v_mov_b32_e32 v160, v158
	v_mov_b32_e32 v161, v157
	v_pk_add_f32 v[142:143], v[160:161], v[142:143]
	v_pk_mul_f32 v[160:161], v[62:63], s[46:47] op_sel_hi:[1,0]
	v_pk_add_f32 v[102:103], v[148:149], v[102:103]
	v_pk_fma_f32 v[162:163], v[60:61], s[34:35], v[160:161] op_sel:[0,0,1] op_sel_hi:[1,0,0]
	v_pk_fma_f32 v[160:161], v[60:61], s[34:35], v[160:161] op_sel:[0,0,1] op_sel_hi:[1,0,0] neg_lo:[0,0,1] neg_hi:[0,0,1]
	v_mov_b32_e32 v164, v162
	v_mov_b32_e32 v165, v161
	v_pk_add_f32 v[142:143], v[164:165], v[142:143]
	v_pk_mul_f32 v[164:165], v[66:67], s[40:41] op_sel_hi:[1,0]
	v_mov_b32_e32 v153, v155
	v_pk_fma_f32 v[166:167], v[64:65], s[10:11], v[164:165] op_sel:[0,0,1] op_sel_hi:[1,0,0]
	v_pk_fma_f32 v[164:165], v[64:65], s[10:11], v[164:165] op_sel:[0,0,1] op_sel_hi:[1,0,0] neg_lo:[0,0,1] neg_hi:[0,0,1]
	v_mov_b32_e32 v168, v166
	v_mov_b32_e32 v169, v165
	v_pk_add_f32 v[102:103], v[152:153], v[102:103]
	v_mov_b32_e32 v157, v159
	v_pk_add_f32 v[142:143], v[168:169], v[142:143]
	v_pk_mul_f32 v[168:169], v[70:71], s[20:21] op_sel_hi:[1,0]
	v_pk_add_f32 v[102:103], v[156:157], v[102:103]
	v_mov_b32_e32 v161, v163
	v_pk_fma_f32 v[170:171], v[68:69], s[18:19], v[168:169] op_sel:[0,0,1] op_sel_hi:[1,0,0]
	v_pk_fma_f32 v[168:169], v[68:69], s[18:19], v[168:169] op_sel:[0,0,1] op_sel_hi:[1,0,0] neg_lo:[0,0,1] neg_hi:[0,0,1]
	v_pk_add_f32 v[102:103], v[160:161], v[102:103]
	v_mov_b32_e32 v165, v167
	v_mov_b32_e32 v172, v170
	;; [unrolled: 1-line block ×3, first 2 shown]
	v_pk_add_f32 v[102:103], v[164:165], v[102:103]
	v_mov_b32_e32 v169, v171
	v_pk_add_f32 v[142:143], v[172:173], v[142:143]
	v_pk_add_f32 v[102:103], v[168:169], v[102:103]
	ds_write2_b64 v33, v[142:143], v[102:103] offset0:144 offset1:194
	v_pk_add_f32 v[102:103], v[0:1], v[108:109]
	v_mov_b32_e32 v79, v77
	v_pk_add_f32 v[72:73], v[0:1], v[74:75]
	v_pk_add_f32 v[102:103], v[114:115], v[102:103]
	v_mov_b32_e32 v119, v121
	v_pk_add_f32 v[72:73], v[78:79], v[72:73]
	v_mov_b32_e32 v83, v81
	v_pk_add_f32 v[14:15], v[0:1], v[14:15]
	v_pk_add_f32 v[102:103], v[118:119], v[102:103]
	v_mov_b32_e32 v123, v125
	;; [unrolled: 5-line block ×4, first 2 shown]
	v_pk_add_f32 v[72:73], v[90:91], v[72:73]
	v_mov_b32_e32 v95, v93
	v_pk_add_f32 v[14:15], v[14:15], v[42:43]
	v_pk_mul_f32 v[40:41], v[8:9], s[16:17] op_sel_hi:[1,0]
	v_pk_add_f32 v[102:103], v[130:131], v[102:103]
	v_mov_b32_e32 v135, v137
	v_pk_add_f32 v[72:73], v[94:95], v[72:73]
	v_mov_b32_e32 v101, v99
	v_pk_add_f32 v[94:95], v[14:15], v[44:45]
	v_pk_fma_f32 v[14:15], v[4:5], s[14:15], v[40:41] op_sel:[0,0,1] op_sel_hi:[1,0,0]
	v_pk_fma_f32 v[40:41], v[4:5], s[14:15], v[40:41] op_sel:[0,0,1] op_sel_hi:[1,0,0] neg_lo:[0,0,1] neg_hi:[0,0,1]
	v_pk_add_f32 v[102:103], v[134:135], v[102:103]
	v_mov_b32_e32 v139, v141
	v_pk_add_f32 v[72:73], v[100:101], v[72:73]
	v_mov_b32_e32 v105, v107
	v_mov_b32_e32 v42, v14
	;; [unrolled: 1-line block ×3, first 2 shown]
	v_pk_mul_f32 v[44:45], v[6:7], s[48:49] op_sel_hi:[1,0]
	v_pk_add_f32 v[102:103], v[138:139], v[102:103]
	v_pk_add_f32 v[72:73], v[104:105], v[72:73]
	v_add_u32_e32 v33, 0xc00, v96
	v_pk_add_f32 v[46:47], v[0:1], v[42:43]
	v_pk_fma_f32 v[42:43], v[2:3], s[26:27], v[44:45] op_sel:[0,0,1] op_sel_hi:[1,0,0]
	v_pk_fma_f32 v[44:45], v[2:3], s[26:27], v[44:45] op_sel:[0,0,1] op_sel_hi:[1,0,0] neg_lo:[0,0,1] neg_hi:[0,0,1]
	ds_write2_b64 v33, v[102:103], v[72:73] offset0:116 offset1:166
	v_mov_b32_e32 v72, v42
	v_mov_b32_e32 v73, v45
	v_pk_add_f32 v[74:75], v[72:73], v[46:47]
	v_pk_mul_f32 v[72:73], v[50:51], s[50:51] op_sel_hi:[1,0]
	v_pk_add_f32 v[10:11], v[94:95], v[10:11]
	v_pk_fma_f32 v[46:47], v[48:49], s[34:35], v[72:73] op_sel:[0,0,1] op_sel_hi:[1,0,0]
	v_pk_fma_f32 v[72:73], v[48:49], s[34:35], v[72:73] op_sel:[0,0,1] op_sel_hi:[1,0,0] neg_lo:[0,0,1] neg_hi:[0,0,1]
	v_mov_b32_e32 v76, v46
	v_mov_b32_e32 v77, v73
	v_pk_add_f32 v[78:79], v[76:77], v[74:75]
	v_pk_mul_f32 v[76:77], v[54:55], s[42:43] op_sel_hi:[1,0]
	v_pk_add_f32 v[10:11], v[10:11], v[12:13]
	v_pk_fma_f32 v[74:75], v[52:53], s[18:19], v[76:77] op_sel:[0,0,1] op_sel_hi:[1,0,0]
	v_pk_fma_f32 v[76:77], v[52:53], s[18:19], v[76:77] op_sel:[0,0,1] op_sel_hi:[1,0,0] neg_lo:[0,0,1] neg_hi:[0,0,1]
	;; [unrolled: 7-line block ×5, first 2 shown]
	v_pk_add_f32 v[10:11], v[10:11], v[24:25]
	v_mov_b32_e32 v92, v86
	v_mov_b32_e32 v93, v89
	v_pk_add_f32 v[10:11], v[10:11], v[26:27]
	v_pk_add_f32 v[98:99], v[92:93], v[90:91]
	v_pk_mul_f32 v[92:93], v[70:71], s[28:29] op_sel_hi:[1,0]
	v_pk_add_f32 v[10:11], v[10:11], v[28:29]
	v_pk_fma_f32 v[90:91], v[68:69], s[24:25], v[92:93] op_sel:[0,0,1] op_sel_hi:[1,0,0]
	v_pk_fma_f32 v[92:93], v[68:69], s[24:25], v[92:93] op_sel:[0,0,1] op_sel_hi:[1,0,0] neg_lo:[0,0,1] neg_hi:[0,0,1]
	v_pk_add_f32 v[10:11], v[10:11], v[30:31]
	v_mov_b32_e32 v100, v90
	v_mov_b32_e32 v101, v93
	v_pk_add_f32 v[10:11], v[10:11], v[38:39]
	v_pk_add_f32 v[98:99], v[100:101], v[98:99]
	;; [unrolled: 1-line block ×3, first 2 shown]
	ds_write2_b64 v96, v[10:11], v[98:99] offset1:50
	v_pk_mul_f32 v[10:11], v[8:9], s[48:49] op_sel_hi:[1,0]
	s_mov_b32 s48, 0x3f06c442
	v_pk_fma_f32 v[12:13], v[4:5], s[26:27], v[10:11] op_sel:[0,0,1] op_sel_hi:[1,0,0]
	v_pk_fma_f32 v[10:11], v[4:5], s[26:27], v[10:11] op_sel:[0,0,1] op_sel_hi:[1,0,0] neg_lo:[0,0,1] neg_hi:[0,0,1]
	v_mov_b32_e32 v16, v12
	v_mov_b32_e32 v17, v11
	v_pk_add_f32 v[20:21], v[0:1], v[16:17]
	v_pk_mul_f32 v[16:17], v[6:7], s[42:43] op_sel_hi:[1,0]
	v_pk_mul_f32 v[114:115], v[6:7], s[8:9] op_sel_hi:[1,0]
	v_pk_fma_f32 v[18:19], v[2:3], s[18:19], v[16:17] op_sel:[0,0,1] op_sel_hi:[1,0,0]
	v_pk_fma_f32 v[16:17], v[2:3], s[18:19], v[16:17] op_sel:[0,0,1] op_sel_hi:[1,0,0] neg_lo:[0,0,1] neg_hi:[0,0,1]
	v_mov_b32_e32 v22, v18
	v_mov_b32_e32 v23, v17
	v_pk_add_f32 v[24:25], v[22:23], v[20:21]
	v_pk_mul_f32 v[22:23], v[50:51], s[8:9] op_sel_hi:[1,0]
	v_pk_fma_f32 v[116:117], v[2:3], s[6:7], v[114:115] op_sel:[0,0,1] op_sel_hi:[1,0,0]
	v_pk_fma_f32 v[20:21], v[48:49], s[6:7], v[22:23] op_sel:[0,0,1] op_sel_hi:[1,0,0]
	v_pk_fma_f32 v[22:23], v[48:49], s[6:7], v[22:23] op_sel:[0,0,1] op_sel_hi:[1,0,0] neg_lo:[0,0,1] neg_hi:[0,0,1]
	v_mov_b32_e32 v26, v20
	v_mov_b32_e32 v27, v23
	v_pk_add_f32 v[28:29], v[26:27], v[24:25]
	v_pk_mul_f32 v[26:27], v[54:55], s[28:29] op_sel_hi:[1,0]
	v_pk_fma_f32 v[114:115], v[2:3], s[6:7], v[114:115] op_sel:[0,0,1] op_sel_hi:[1,0,0] neg_lo:[0,0,1] neg_hi:[0,0,1]
	v_pk_fma_f32 v[24:25], v[52:53], s[24:25], v[26:27] op_sel:[0,0,1] op_sel_hi:[1,0,0]
	v_pk_fma_f32 v[26:27], v[52:53], s[24:25], v[26:27] op_sel:[0,0,1] op_sel_hi:[1,0,0] neg_lo:[0,0,1] neg_hi:[0,0,1]
	v_mov_b32_e32 v30, v24
	v_mov_b32_e32 v31, v27
	v_pk_add_f32 v[38:39], v[30:31], v[28:29]
	v_pk_mul_f32 v[30:31], v[58:59], s[48:49] op_sel_hi:[1,0]
	v_mov_b32_e32 v118, v116
	v_pk_fma_f32 v[28:29], v[56:57], s[22:23], v[30:31] op_sel:[0,0,1] op_sel_hi:[1,0,0]
	v_pk_fma_f32 v[30:31], v[56:57], s[22:23], v[30:31] op_sel:[0,0,1] op_sel_hi:[1,0,0] neg_lo:[0,0,1] neg_hi:[0,0,1]
	v_mov_b32_e32 v94, v28
	v_mov_b32_e32 v95, v31
	v_pk_add_f32 v[98:99], v[94:95], v[38:39]
	v_pk_mul_f32 v[94:95], v[62:63], s[12:13] op_sel_hi:[1,0]
	v_mov_b32_e32 v119, v115
	v_pk_fma_f32 v[38:39], v[60:61], s[10:11], v[94:95] op_sel:[0,0,1] op_sel_hi:[1,0,0]
	v_pk_fma_f32 v[94:95], v[60:61], s[10:11], v[94:95] op_sel:[0,0,1] op_sel_hi:[1,0,0] neg_lo:[0,0,1] neg_hi:[0,0,1]
	v_mov_b32_e32 v100, v38
	v_mov_b32_e32 v101, v95
	v_pk_add_f32 v[98:99], v[100:101], v[98:99]
	v_pk_mul_f32 v[100:101], v[66:67], s[46:47] op_sel_hi:[1,0]
	s_mov_b32 s46, 0x3e3c28d5
	v_pk_fma_f32 v[102:103], v[64:65], s[34:35], v[100:101] op_sel:[0,0,1] op_sel_hi:[1,0,0]
	v_pk_fma_f32 v[100:101], v[64:65], s[34:35], v[100:101] op_sel:[0,0,1] op_sel_hi:[1,0,0] neg_lo:[0,0,1] neg_hi:[0,0,1]
	v_mov_b32_e32 v104, v102
	v_mov_b32_e32 v105, v101
	v_pk_add_f32 v[98:99], v[104:105], v[98:99]
	v_pk_mul_f32 v[104:105], v[70:71], s[44:45] op_sel_hi:[1,0]
	v_pk_mul_f32 v[144:145], v[6:7], s[28:29] op_sel_hi:[1,0]
	v_pk_fma_f32 v[106:107], v[68:69], s[14:15], v[104:105] op_sel:[0,0,1] op_sel_hi:[1,0,0]
	v_pk_fma_f32 v[104:105], v[68:69], s[14:15], v[104:105] op_sel:[0,0,1] op_sel_hi:[1,0,0] neg_lo:[0,0,1] neg_hi:[0,0,1]
	v_mov_b32_e32 v108, v106
	v_mov_b32_e32 v109, v105
	v_pk_add_f32 v[98:99], v[108:109], v[98:99]
	v_pk_mul_f32 v[108:109], v[8:9], s[50:51] op_sel_hi:[1,0]
	v_pk_fma_f32 v[146:147], v[2:3], s[24:25], v[144:145] op_sel:[0,0,1] op_sel_hi:[1,0,0]
	v_pk_fma_f32 v[110:111], v[4:5], s[34:35], v[108:109] op_sel:[0,0,1] op_sel_hi:[1,0,0]
	v_pk_fma_f32 v[108:109], v[4:5], s[34:35], v[108:109] op_sel:[0,0,1] op_sel_hi:[1,0,0] neg_lo:[0,0,1] neg_hi:[0,0,1]
	v_mov_b32_e32 v112, v110
	v_mov_b32_e32 v113, v109
	v_pk_add_f32 v[112:113], v[0:1], v[112:113]
	v_pk_fma_f32 v[144:145], v[2:3], s[24:25], v[144:145] op_sel:[0,0,1] op_sel_hi:[1,0,0] neg_lo:[0,0,1] neg_hi:[0,0,1]
	v_pk_add_f32 v[112:113], v[118:119], v[112:113]
	v_pk_mul_f32 v[118:119], v[50:51], s[46:47] op_sel_hi:[1,0]
	v_mov_b32_e32 v148, v146
	v_pk_fma_f32 v[120:121], v[48:49], s[24:25], v[118:119] op_sel:[0,0,1] op_sel_hi:[1,0,0]
	v_pk_fma_f32 v[118:119], v[48:49], s[24:25], v[118:119] op_sel:[0,0,1] op_sel_hi:[1,0,0] neg_lo:[0,0,1] neg_hi:[0,0,1]
	v_mov_b32_e32 v122, v120
	v_mov_b32_e32 v123, v119
	v_pk_add_f32 v[112:113], v[122:123], v[112:113]
	v_pk_mul_f32 v[122:123], v[54:55], s[12:13] op_sel_hi:[1,0]
	v_mov_b32_e32 v149, v145
	v_pk_fma_f32 v[124:125], v[52:53], s[10:11], v[122:123] op_sel:[0,0,1] op_sel_hi:[1,0,0]
	v_pk_fma_f32 v[122:123], v[52:53], s[10:11], v[122:123] op_sel:[0,0,1] op_sel_hi:[1,0,0] neg_lo:[0,0,1] neg_hi:[0,0,1]
	v_mov_b32_e32 v126, v124
	v_mov_b32_e32 v127, v123
	v_pk_add_f32 v[112:113], v[126:127], v[112:113]
	v_pk_mul_f32 v[126:127], v[58:59], s[36:37] op_sel_hi:[1,0]
	v_pk_mul_f32 v[6:7], v[6:7], s[48:49] op_sel_hi:[1,0]
	v_pk_fma_f32 v[128:129], v[56:57], s[26:27], v[126:127] op_sel:[0,0,1] op_sel_hi:[1,0,0]
	v_pk_fma_f32 v[126:127], v[56:57], s[26:27], v[126:127] op_sel:[0,0,1] op_sel_hi:[1,0,0] neg_lo:[0,0,1] neg_hi:[0,0,1]
	v_mov_b32_e32 v130, v128
	v_mov_b32_e32 v131, v127
	v_pk_add_f32 v[112:113], v[130:131], v[112:113]
	v_pk_mul_f32 v[130:131], v[62:63], s[16:17] op_sel_hi:[1,0]
	v_mov_b32_e32 v145, v147
	v_pk_fma_f32 v[132:133], v[60:61], s[14:15], v[130:131] op_sel:[0,0,1] op_sel_hi:[1,0,0]
	v_pk_fma_f32 v[130:131], v[60:61], s[14:15], v[130:131] op_sel:[0,0,1] op_sel_hi:[1,0,0] neg_lo:[0,0,1] neg_hi:[0,0,1]
	v_mov_b32_e32 v134, v132
	v_mov_b32_e32 v135, v131
	v_pk_add_f32 v[112:113], v[134:135], v[112:113]
	v_pk_mul_f32 v[134:135], v[66:67], s[42:43] op_sel_hi:[1,0]
	v_mov_b32_e32 v109, v111
	;; [unrolled: 7-line block ×3, first 2 shown]
	v_pk_fma_f32 v[140:141], v[68:69], s[22:23], v[138:139] op_sel:[0,0,1] op_sel_hi:[1,0,0]
	v_pk_fma_f32 v[138:139], v[68:69], s[22:23], v[138:139] op_sel:[0,0,1] op_sel_hi:[1,0,0] neg_lo:[0,0,1] neg_hi:[0,0,1]
	v_mov_b32_e32 v142, v140
	v_mov_b32_e32 v143, v139
	v_pk_add_f32 v[112:113], v[142:143], v[112:113]
	ds_write2_b64 v96, v[98:99], v[112:113] offset0:100 offset1:150
	v_pk_mul_f32 v[98:99], v[8:9], s[42:43] op_sel_hi:[1,0]
	v_pk_mul_f32 v[8:9], v[8:9], s[40:41] op_sel_hi:[1,0]
	v_pk_fma_f32 v[112:113], v[4:5], s[18:19], v[98:99] op_sel:[0,0,1] op_sel_hi:[1,0,0]
	v_pk_fma_f32 v[98:99], v[4:5], s[18:19], v[98:99] op_sel:[0,0,1] op_sel_hi:[1,0,0] neg_lo:[0,0,1] neg_hi:[0,0,1]
	v_mov_b32_e32 v142, v112
	v_mov_b32_e32 v143, v99
	v_pk_add_f32 v[142:143], v[0:1], v[142:143]
	v_mov_b32_e32 v99, v113
	v_pk_add_f32 v[142:143], v[148:149], v[142:143]
	v_pk_mul_f32 v[148:149], v[50:51], s[12:13] op_sel_hi:[1,0]
	v_pk_mul_f32 v[50:51], v[50:51], s[36:37] op_sel_hi:[1,0]
	v_pk_fma_f32 v[150:151], v[48:49], s[10:11], v[148:149] op_sel:[0,0,1] op_sel_hi:[1,0,0]
	v_pk_fma_f32 v[148:149], v[48:49], s[10:11], v[148:149] op_sel:[0,0,1] op_sel_hi:[1,0,0] neg_lo:[0,0,1] neg_hi:[0,0,1]
	v_mov_b32_e32 v152, v150
	v_mov_b32_e32 v153, v149
	v_pk_add_f32 v[142:143], v[152:153], v[142:143]
	v_pk_mul_f32 v[152:153], v[54:55], s[44:45] op_sel_hi:[1,0]
	v_mov_b32_e32 v149, v151
	v_pk_fma_f32 v[154:155], v[52:53], s[14:15], v[152:153] op_sel:[0,0,1] op_sel_hi:[1,0,0]
	v_pk_fma_f32 v[152:153], v[52:53], s[14:15], v[152:153] op_sel:[0,0,1] op_sel_hi:[1,0,0] neg_lo:[0,0,1] neg_hi:[0,0,1]
	v_mov_b32_e32 v156, v154
	v_mov_b32_e32 v157, v153
	v_pk_add_f32 v[142:143], v[156:157], v[142:143]
	v_pk_mul_f32 v[156:157], v[58:59], s[50:51] op_sel_hi:[1,0]
	v_mov_b32_e32 v153, v155
	;; [unrolled: 7-line block ×5, first 2 shown]
	v_pk_fma_f32 v[170:171], v[68:69], s[26:27], v[168:169] op_sel:[0,0,1] op_sel_hi:[1,0,0]
	v_pk_fma_f32 v[168:169], v[68:69], s[26:27], v[168:169] op_sel:[0,0,1] op_sel_hi:[1,0,0] neg_lo:[0,0,1] neg_hi:[0,0,1]
	v_mov_b32_e32 v172, v170
	v_mov_b32_e32 v173, v169
	v_pk_add_f32 v[142:143], v[172:173], v[142:143]
	v_pk_fma_f32 v[172:173], v[4:5], s[10:11], v[8:9] op_sel:[0,0,1] op_sel_hi:[1,0,0]
	v_pk_fma_f32 v[4:5], v[4:5], s[10:11], v[8:9] op_sel:[0,0,1] op_sel_hi:[1,0,0] neg_lo:[0,0,1] neg_hi:[0,0,1]
	v_pk_fma_f32 v[8:9], v[2:3], s[22:23], v[6:7] op_sel:[0,0,1] op_sel_hi:[1,0,0]
	v_pk_fma_f32 v[2:3], v[2:3], s[22:23], v[6:7] op_sel:[0,0,1] op_sel_hi:[1,0,0] neg_lo:[0,0,1] neg_hi:[0,0,1]
	v_mov_b32_e32 v6, v172
	v_mov_b32_e32 v7, v5
	v_pk_add_f32 v[6:7], v[0:1], v[6:7]
	v_mov_b32_e32 v174, v8
	v_mov_b32_e32 v175, v3
	v_pk_add_f32 v[6:7], v[174:175], v[6:7]
	v_pk_fma_f32 v[174:175], v[48:49], s[26:27], v[50:51] op_sel:[0,0,1] op_sel_hi:[1,0,0]
	v_pk_fma_f32 v[48:49], v[48:49], s[26:27], v[50:51] op_sel:[0,0,1] op_sel_hi:[1,0,0] neg_lo:[0,0,1] neg_hi:[0,0,1]
	v_mov_b32_e32 v50, v174
	v_mov_b32_e32 v51, v49
	v_pk_add_f32 v[6:7], v[50:51], v[6:7]
	v_pk_mul_f32 v[50:51], v[54:55], s[50:51] op_sel_hi:[1,0]
	v_mov_b32_e32 v5, v173
	v_pk_fma_f32 v[54:55], v[52:53], s[34:35], v[50:51] op_sel:[0,0,1] op_sel_hi:[1,0,0]
	v_pk_fma_f32 v[50:51], v[52:53], s[34:35], v[50:51] op_sel:[0,0,1] op_sel_hi:[1,0,0] neg_lo:[0,0,1] neg_hi:[0,0,1]
	v_mov_b32_e32 v52, v54
	v_mov_b32_e32 v53, v51
	v_pk_add_f32 v[6:7], v[52:53], v[6:7]
	v_pk_mul_f32 v[52:53], v[58:59], s[28:29] op_sel_hi:[1,0]
	v_mov_b32_e32 v3, v9
	v_pk_fma_f32 v[58:59], v[56:57], s[24:25], v[52:53] op_sel:[0,0,1] op_sel_hi:[1,0,0]
	v_pk_fma_f32 v[52:53], v[56:57], s[24:25], v[52:53] op_sel:[0,0,1] op_sel_hi:[1,0,0] neg_lo:[0,0,1] neg_hi:[0,0,1]
	v_mov_b32_e32 v56, v58
	v_mov_b32_e32 v57, v53
	v_pk_add_f32 v[6:7], v[56:57], v[6:7]
	v_pk_mul_f32 v[56:57], v[62:63], s[20:21] op_sel_hi:[1,0]
	v_pk_add_f32 v[4:5], v[0:1], v[4:5]
	v_pk_fma_f32 v[62:63], v[60:61], s[18:19], v[56:57] op_sel:[0,0,1] op_sel_hi:[1,0,0]
	v_pk_fma_f32 v[56:57], v[60:61], s[18:19], v[56:57] op_sel:[0,0,1] op_sel_hi:[1,0,0] neg_lo:[0,0,1] neg_hi:[0,0,1]
	v_mov_b32_e32 v60, v62
	v_mov_b32_e32 v61, v57
	v_pk_add_f32 v[6:7], v[60:61], v[6:7]
	v_pk_mul_f32 v[60:61], v[66:67], s[16:17] op_sel_hi:[1,0]
	v_pk_add_f32 v[2:3], v[2:3], v[4:5]
	v_pk_add_f32 v[4:5], v[0:1], v[98:99]
	v_pk_fma_f32 v[66:67], v[64:65], s[14:15], v[60:61] op_sel:[0,0,1] op_sel_hi:[1,0,0]
	v_pk_fma_f32 v[60:61], v[64:65], s[14:15], v[60:61] op_sel:[0,0,1] op_sel_hi:[1,0,0] neg_lo:[0,0,1] neg_hi:[0,0,1]
	v_mov_b32_e32 v49, v175
	v_pk_add_f32 v[4:5], v[144:145], v[4:5]
	v_mov_b32_e32 v64, v66
	v_mov_b32_e32 v65, v61
	v_pk_add_f32 v[2:3], v[48:49], v[2:3]
	v_mov_b32_e32 v51, v55
	v_pk_add_f32 v[4:5], v[148:149], v[4:5]
	v_pk_add_f32 v[6:7], v[64:65], v[6:7]
	v_pk_mul_f32 v[64:65], v[70:71], s[8:9] op_sel_hi:[1,0]
	v_pk_add_f32 v[2:3], v[50:51], v[2:3]
	v_mov_b32_e32 v53, v59
	v_pk_add_f32 v[4:5], v[152:153], v[4:5]
	v_pk_fma_f32 v[70:71], v[68:69], s[6:7], v[64:65] op_sel:[0,0,1] op_sel_hi:[1,0,0]
	v_pk_fma_f32 v[64:65], v[68:69], s[6:7], v[64:65] op_sel:[0,0,1] op_sel_hi:[1,0,0] neg_lo:[0,0,1] neg_hi:[0,0,1]
	v_pk_add_f32 v[2:3], v[52:53], v[2:3]
	v_mov_b32_e32 v57, v63
	v_pk_add_f32 v[4:5], v[156:157], v[4:5]
	v_mov_b32_e32 v68, v70
	v_mov_b32_e32 v69, v65
	v_pk_add_f32 v[2:3], v[56:57], v[2:3]
	v_mov_b32_e32 v61, v67
	v_pk_add_f32 v[4:5], v[160:161], v[4:5]
	v_pk_add_f32 v[6:7], v[68:69], v[6:7]
	v_pk_add_f32 v[2:3], v[60:61], v[2:3]
	v_mov_b32_e32 v65, v71
	v_pk_add_f32 v[4:5], v[164:165], v[4:5]
	v_mov_b32_e32 v169, v171
	ds_write2_b64 v96, v[142:143], v[6:7] offset0:200 offset1:250
	v_pk_add_f32 v[2:3], v[64:65], v[2:3]
	v_pk_add_f32 v[4:5], v[168:169], v[4:5]
	v_add_u32_e32 v6, 0x1000, v96
	v_mov_b32_e32 v41, v15
	ds_write2_b64 v6, v[2:3], v[4:5] offset0:88 offset1:138
	v_mov_b32_e32 v115, v117
	v_pk_add_f32 v[2:3], v[0:1], v[108:109]
	v_mov_b32_e32 v17, v19
	v_pk_add_f32 v[4:5], v[0:1], v[10:11]
	v_pk_add_f32 v[0:1], v[0:1], v[40:41]
	v_mov_b32_e32 v45, v43
	v_pk_add_f32 v[2:3], v[114:115], v[2:3]
	v_mov_b32_e32 v119, v121
	;; [unrolled: 2-line block ×19, first 2 shown]
	v_pk_add_f32 v[2:3], v[138:139], v[2:3]
	v_pk_add_f32 v[4:5], v[104:105], v[4:5]
	;; [unrolled: 1-line block ×3, first 2 shown]
	ds_write2_b64 v6, v[2:3], v[4:5] offset0:188 offset1:238
	ds_write_b64 v96, v[0:1] offset:6400
.LBB0_17:
	s_or_b64 exec, exec, s[2:3]
	s_waitcnt lgkmcnt(0)
	s_barrier
	ds_read_b64 v[6:7], v96
	s_add_u32 s2, s4, 0x1a40
	v_lshlrev_b32_e32 v0, 3, v32
	s_addc_u32 s3, s5, 0
	v_sub_u32_e32 v8, 0, v0
	v_cmp_ne_u32_e32 vcc, 0, v32
                                        ; implicit-def: $vgpr5
                                        ; implicit-def: $vgpr2_vgpr3
                                        ; implicit-def: $vgpr0_vgpr1
	s_and_saveexec_b64 s[4:5], vcc
	s_xor_b64 s[4:5], exec, s[4:5]
	s_cbranch_execz .LBB0_19
; %bb.18:
	v_mov_b32_e32 v33, 0
	v_lshl_add_u64 v[0:1], v[32:33], 3, s[2:3]
	global_load_dwordx2 v[0:1], v[0:1], off
	ds_read_b64 v[2:3], v8 offset:6800
	v_mov_b32_e32 v5, 0.5
	v_mov_b32_e32 v10, v5
	s_waitcnt lgkmcnt(0)
	v_pk_add_f32 v[12:13], v[2:3], v[6:7]
	v_pk_add_f32 v[2:3], v[6:7], v[2:3] neg_lo:[0,1] neg_hi:[0,1]
	v_mov_b32_e32 v6, v13
	v_mov_b32_e32 v7, v2
	v_pk_mul_f32 v[6:7], v[6:7], 0.5 op_sel_hi:[1,0]
	s_waitcnt vmcnt(0)
	v_mov_b32_e32 v4, v1
	v_mov_b32_e32 v2, v7
	;; [unrolled: 1-line block ×4, first 2 shown]
	v_pk_mul_f32 v[2:3], v[4:5], v[2:3]
	v_pk_mul_f32 v[14:15], v[0:1], v[6:7] op_sel_hi:[0,1]
	v_pk_fma_f32 v[16:17], v[12:13], v[10:11], v[2:3]
	v_pk_fma_f32 v[2:3], v[12:13], v[10:11], v[2:3] neg_lo:[0,0,1] neg_hi:[0,0,1]
	v_pk_fma_f32 v[4:5], v[0:1], v[6:7], v[16:17] op_sel_hi:[0,1,1] neg_lo:[1,0,0] neg_hi:[1,0,0]
	v_pk_fma_f32 v[2:3], v[0:1], v[6:7], v[2:3] op_sel_hi:[0,1,1] neg_lo:[1,0,0] neg_hi:[1,0,0]
	v_add_f32_e32 v4, v16, v14
	v_mov_b64_e32 v[0:1], v[32:33]
                                        ; implicit-def: $vgpr6_vgpr7
.LBB0_19:
	s_andn2_saveexec_b64 s[4:5], s[4:5]
	s_cbranch_execz .LBB0_21
; %bb.20:
	s_waitcnt lgkmcnt(0)
	v_mov_b32_e32 v0, v7
	v_pk_add_f32 v[2:3], v[6:7], v[0:1] neg_lo:[0,1] neg_hi:[0,1]
	v_add_f32_e32 v4, v7, v6
	v_mov_b32_e32 v3, 0
	ds_read_b32 v5, v3 offset:3404
	v_mov_b64_e32 v[0:1], 0
	s_waitcnt lgkmcnt(0)
	v_xor_b32_e32 v5, 0x80000000, v5
	ds_write_b32 v3, v5 offset:3404
	v_mov_b32_e32 v5, v3
.LBB0_21:
	s_or_b64 exec, exec, s[4:5]
	v_mov_b32_e32 v37, 0
	s_waitcnt lgkmcnt(0)
	v_lshl_add_u64 v[6:7], v[36:37], 3, s[2:3]
	global_load_dwordx2 v[6:7], v[6:7], off
	v_lshl_add_u64 v[10:11], v[0:1], 3, s[2:3]
	global_load_dwordx2 v[12:13], v[10:11], off offset:1360
	global_load_dwordx2 v[14:15], v[10:11], off offset:2040
	;; [unrolled: 1-line block ×3, first 2 shown]
	ds_write_b64 v96, v[4:5]
	ds_write_b64 v8, v[2:3] offset:6800
	ds_read_b64 v[2:3], v97
	ds_read_b64 v[4:5], v8 offset:6120
	v_mov_b32_e32 v11, 0.5
	v_mov_b32_e32 v18, v11
	s_waitcnt lgkmcnt(0)
	v_pk_add_f32 v[20:21], v[2:3], v[4:5]
	v_pk_add_f32 v[2:3], v[2:3], v[4:5] neg_lo:[0,1] neg_hi:[0,1]
	v_mov_b32_e32 v4, v21
	v_mov_b32_e32 v5, v2
	v_pk_mul_f32 v[4:5], v[4:5], 0.5 op_sel_hi:[1,0]
	s_waitcnt vmcnt(3)
	v_mov_b32_e32 v19, v7
	v_mov_b32_e32 v21, v4
	;; [unrolled: 1-line block ×4, first 2 shown]
	v_pk_mul_f32 v[18:19], v[20:21], v[18:19]
	s_nop 0
	v_pk_fma_f32 v[20:21], v[10:11], v[2:3], v[18:19] neg_lo:[1,0,0] neg_hi:[1,0,0]
	v_pk_fma_f32 v[2:3], v[10:11], v[2:3], v[18:19]
	v_pk_fma_f32 v[18:19], v[6:7], v[4:5], v[20:21] op_sel_hi:[0,1,1] neg_lo:[1,0,0] neg_hi:[1,0,0]
	v_pk_fma_f32 v[20:21], v[6:7], v[4:5], v[2:3] op_sel_hi:[0,1,1]
	v_pk_fma_f32 v[2:3], v[6:7], v[4:5], v[2:3] op_sel_hi:[0,1,1] neg_lo:[1,0,0] neg_hi:[1,0,0]
	v_mov_b32_e32 v21, v3
	ds_write_b64 v97, v[20:21]
	ds_write_b64 v8, v[18:19] offset:6120
	ds_read_b64 v[2:3], v96 offset:1360
	ds_read_b64 v[4:5], v8 offset:5440
	v_mov_b32_e32 v6, v11
	s_waitcnt vmcnt(2)
	v_mov_b32_e32 v7, v13
	v_mov_b32_e32 v10, v13
	s_waitcnt lgkmcnt(0)
	v_pk_add_f32 v[18:19], v[2:3], v[4:5]
	v_pk_add_f32 v[2:3], v[2:3], v[4:5] neg_lo:[0,1] neg_hi:[0,1]
	v_mov_b32_e32 v4, v19
	v_mov_b32_e32 v5, v2
	v_pk_mul_f32 v[4:5], v[4:5], 0.5 op_sel_hi:[1,0]
	s_nop 0
	v_mov_b32_e32 v19, v4
	v_mov_b32_e32 v2, v5
	v_pk_mul_f32 v[6:7], v[18:19], v[6:7]
	s_nop 0
	v_pk_fma_f32 v[18:19], v[10:11], v[2:3], v[6:7] neg_lo:[1,0,0] neg_hi:[1,0,0]
	v_pk_fma_f32 v[2:3], v[10:11], v[2:3], v[6:7]
	v_pk_fma_f32 v[6:7], v[12:13], v[4:5], v[18:19] op_sel_hi:[0,1,1] neg_lo:[1,0,0] neg_hi:[1,0,0]
	v_pk_fma_f32 v[18:19], v[12:13], v[4:5], v[2:3] op_sel_hi:[0,1,1]
	v_pk_fma_f32 v[2:3], v[12:13], v[4:5], v[2:3] op_sel_hi:[0,1,1] neg_lo:[1,0,0] neg_hi:[1,0,0]
	v_mov_b32_e32 v19, v3
	ds_write_b64 v96, v[18:19] offset:1360
	ds_write_b64 v8, v[6:7] offset:5440
	ds_read_b64 v[2:3], v96 offset:2040
	ds_read_b64 v[4:5], v8 offset:4760
	v_mov_b32_e32 v6, v11
	s_waitcnt vmcnt(1)
	v_mov_b32_e32 v7, v15
	v_mov_b32_e32 v10, v15
	s_waitcnt lgkmcnt(0)
	v_pk_add_f32 v[12:13], v[2:3], v[4:5]
	v_pk_add_f32 v[2:3], v[2:3], v[4:5] neg_lo:[0,1] neg_hi:[0,1]
	v_mov_b32_e32 v4, v13
	v_mov_b32_e32 v5, v2
	v_pk_mul_f32 v[4:5], v[4:5], 0.5 op_sel_hi:[1,0]
	s_nop 0
	v_mov_b32_e32 v13, v4
	v_mov_b32_e32 v2, v5
	v_pk_mul_f32 v[6:7], v[12:13], v[6:7]
	s_nop 0
	v_pk_fma_f32 v[12:13], v[10:11], v[2:3], v[6:7] neg_lo:[1,0,0] neg_hi:[1,0,0]
	v_pk_fma_f32 v[2:3], v[10:11], v[2:3], v[6:7]
	v_pk_fma_f32 v[6:7], v[14:15], v[4:5], v[12:13] op_sel_hi:[0,1,1] neg_lo:[1,0,0] neg_hi:[1,0,0]
	v_pk_fma_f32 v[12:13], v[14:15], v[4:5], v[2:3] op_sel_hi:[0,1,1]
	v_pk_fma_f32 v[2:3], v[14:15], v[4:5], v[2:3] op_sel_hi:[0,1,1] neg_lo:[1,0,0] neg_hi:[1,0,0]
	v_mov_b32_e32 v13, v3
	ds_write_b64 v96, v[12:13] offset:2040
	;; [unrolled: 25-line block ×3, first 2 shown]
	ds_write_b64 v8, v[6:7] offset:4080
	s_waitcnt lgkmcnt(0)
	s_barrier
	s_and_saveexec_b64 s[2:3], s[0:1]
	s_cbranch_execz .LBB0_24
; %bb.22:
	ds_read2_b64 v[2:5], v96 offset1:85
	v_lshl_add_u64 v[14:15], v[0:1], 3, v[34:35]
	ds_read2_b64 v[6:9], v96 offset0:170 offset1:255
	v_add_u32_e32 v0, 0x800, v96
	s_movk_i32 s0, 0x54
	s_waitcnt lgkmcnt(1)
	global_store_dwordx2 v[14:15], v[2:3], off
	global_store_dwordx2 v[14:15], v[4:5], off offset:680
	ds_read2_b64 v[0:3], v0 offset0:84 offset1:169
	v_add_u32_e32 v4, 0xc00, v96
	ds_read2_b64 v[10:13], v4 offset0:126 offset1:211
	s_waitcnt lgkmcnt(2)
	global_store_dwordx2 v[14:15], v[6:7], off offset:1360
	global_store_dwordx2 v[14:15], v[8:9], off offset:2040
	s_waitcnt lgkmcnt(1)
	global_store_dwordx2 v[14:15], v[0:1], off offset:2720
	global_store_dwordx2 v[14:15], v[2:3], off offset:3400
	s_waitcnt lgkmcnt(0)
	global_store_dwordx2 v[14:15], v[10:11], off offset:4080
	v_add_u32_e32 v0, 0x1000, v96
	ds_read2_b64 v[0:3], v0 offset0:168 offset1:253
	v_add_co_u32_e32 v4, vcc, 0x1000, v14
	s_nop 1
	v_addc_co_u32_e32 v5, vcc, 0, v15, vcc
	v_cmp_eq_u32_e32 vcc, s0, v32
	global_store_dwordx2 v[4:5], v[12:13], off offset:664
	s_waitcnt lgkmcnt(0)
	global_store_dwordx2 v[4:5], v[0:1], off offset:1344
	global_store_dwordx2 v[4:5], v[2:3], off offset:2024
	s_and_b64 exec, exec, vcc
	s_cbranch_execz .LBB0_24
; %bb.23:
	v_mov_b32_e32 v0, 0
	ds_read_b64 v[0:1], v0 offset:6800
	v_add_co_u32_e32 v2, vcc, 0x1000, v34
	s_nop 1
	v_addc_co_u32_e32 v3, vcc, 0, v35, vcc
	s_waitcnt lgkmcnt(0)
	global_store_dwordx2 v[2:3], v[0:1], off offset:2704
.LBB0_24:
	s_endpgm
	.section	.rodata,"a",@progbits
	.p2align	6, 0x0
	.amdhsa_kernel fft_rtc_back_len850_factors_10_5_17_wgs_85_tpt_85_sp_ip_CI_unitstride_sbrr_R2C_dirReg
		.amdhsa_group_segment_fixed_size 0
		.amdhsa_private_segment_fixed_size 0
		.amdhsa_kernarg_size 88
		.amdhsa_user_sgpr_count 2
		.amdhsa_user_sgpr_dispatch_ptr 0
		.amdhsa_user_sgpr_queue_ptr 0
		.amdhsa_user_sgpr_kernarg_segment_ptr 1
		.amdhsa_user_sgpr_dispatch_id 0
		.amdhsa_user_sgpr_kernarg_preload_length 0
		.amdhsa_user_sgpr_kernarg_preload_offset 0
		.amdhsa_user_sgpr_private_segment_size 0
		.amdhsa_uses_dynamic_stack 0
		.amdhsa_enable_private_segment 0
		.amdhsa_system_sgpr_workgroup_id_x 1
		.amdhsa_system_sgpr_workgroup_id_y 0
		.amdhsa_system_sgpr_workgroup_id_z 0
		.amdhsa_system_sgpr_workgroup_info 0
		.amdhsa_system_vgpr_workitem_id 0
		.amdhsa_next_free_vgpr 176
		.amdhsa_next_free_sgpr 52
		.amdhsa_accum_offset 176
		.amdhsa_reserve_vcc 1
		.amdhsa_float_round_mode_32 0
		.amdhsa_float_round_mode_16_64 0
		.amdhsa_float_denorm_mode_32 3
		.amdhsa_float_denorm_mode_16_64 3
		.amdhsa_dx10_clamp 1
		.amdhsa_ieee_mode 1
		.amdhsa_fp16_overflow 0
		.amdhsa_tg_split 0
		.amdhsa_exception_fp_ieee_invalid_op 0
		.amdhsa_exception_fp_denorm_src 0
		.amdhsa_exception_fp_ieee_div_zero 0
		.amdhsa_exception_fp_ieee_overflow 0
		.amdhsa_exception_fp_ieee_underflow 0
		.amdhsa_exception_fp_ieee_inexact 0
		.amdhsa_exception_int_div_zero 0
	.end_amdhsa_kernel
	.text
.Lfunc_end0:
	.size	fft_rtc_back_len850_factors_10_5_17_wgs_85_tpt_85_sp_ip_CI_unitstride_sbrr_R2C_dirReg, .Lfunc_end0-fft_rtc_back_len850_factors_10_5_17_wgs_85_tpt_85_sp_ip_CI_unitstride_sbrr_R2C_dirReg
                                        ; -- End function
	.section	.AMDGPU.csdata,"",@progbits
; Kernel info:
; codeLenInByte = 9668
; NumSgprs: 58
; NumVgprs: 176
; NumAgprs: 0
; TotalNumVgprs: 176
; ScratchSize: 0
; MemoryBound: 0
; FloatMode: 240
; IeeeMode: 1
; LDSByteSize: 0 bytes/workgroup (compile time only)
; SGPRBlocks: 7
; VGPRBlocks: 21
; NumSGPRsForWavesPerEU: 58
; NumVGPRsForWavesPerEU: 176
; AccumOffset: 176
; Occupancy: 2
; WaveLimiterHint : 1
; COMPUTE_PGM_RSRC2:SCRATCH_EN: 0
; COMPUTE_PGM_RSRC2:USER_SGPR: 2
; COMPUTE_PGM_RSRC2:TRAP_HANDLER: 0
; COMPUTE_PGM_RSRC2:TGID_X_EN: 1
; COMPUTE_PGM_RSRC2:TGID_Y_EN: 0
; COMPUTE_PGM_RSRC2:TGID_Z_EN: 0
; COMPUTE_PGM_RSRC2:TIDIG_COMP_CNT: 0
; COMPUTE_PGM_RSRC3_GFX90A:ACCUM_OFFSET: 43
; COMPUTE_PGM_RSRC3_GFX90A:TG_SPLIT: 0
	.text
	.p2alignl 6, 3212836864
	.fill 256, 4, 3212836864
	.type	__hip_cuid_a1ebee2e59727f92,@object ; @__hip_cuid_a1ebee2e59727f92
	.section	.bss,"aw",@nobits
	.globl	__hip_cuid_a1ebee2e59727f92
__hip_cuid_a1ebee2e59727f92:
	.byte	0                               ; 0x0
	.size	__hip_cuid_a1ebee2e59727f92, 1

	.ident	"AMD clang version 19.0.0git (https://github.com/RadeonOpenCompute/llvm-project roc-6.4.0 25133 c7fe45cf4b819c5991fe208aaa96edf142730f1d)"
	.section	".note.GNU-stack","",@progbits
	.addrsig
	.addrsig_sym __hip_cuid_a1ebee2e59727f92
	.amdgpu_metadata
---
amdhsa.kernels:
  - .agpr_count:     0
    .args:
      - .actual_access:  read_only
        .address_space:  global
        .offset:         0
        .size:           8
        .value_kind:     global_buffer
      - .offset:         8
        .size:           8
        .value_kind:     by_value
      - .actual_access:  read_only
        .address_space:  global
        .offset:         16
        .size:           8
        .value_kind:     global_buffer
      - .actual_access:  read_only
        .address_space:  global
        .offset:         24
        .size:           8
        .value_kind:     global_buffer
      - .offset:         32
        .size:           8
        .value_kind:     by_value
      - .actual_access:  read_only
        .address_space:  global
        .offset:         40
        .size:           8
        .value_kind:     global_buffer
      - .actual_access:  read_only
        .address_space:  global
        .offset:         48
        .size:           8
        .value_kind:     global_buffer
      - .offset:         56
        .size:           4
        .value_kind:     by_value
      - .actual_access:  read_only
        .address_space:  global
        .offset:         64
        .size:           8
        .value_kind:     global_buffer
      - .actual_access:  read_only
        .address_space:  global
        .offset:         72
        .size:           8
        .value_kind:     global_buffer
      - .address_space:  global
        .offset:         80
        .size:           8
        .value_kind:     global_buffer
    .group_segment_fixed_size: 0
    .kernarg_segment_align: 8
    .kernarg_segment_size: 88
    .language:       OpenCL C
    .language_version:
      - 2
      - 0
    .max_flat_workgroup_size: 85
    .name:           fft_rtc_back_len850_factors_10_5_17_wgs_85_tpt_85_sp_ip_CI_unitstride_sbrr_R2C_dirReg
    .private_segment_fixed_size: 0
    .sgpr_count:     58
    .sgpr_spill_count: 0
    .symbol:         fft_rtc_back_len850_factors_10_5_17_wgs_85_tpt_85_sp_ip_CI_unitstride_sbrr_R2C_dirReg.kd
    .uniform_work_group_size: 1
    .uses_dynamic_stack: false
    .vgpr_count:     176
    .vgpr_spill_count: 0
    .wavefront_size: 64
amdhsa.target:   amdgcn-amd-amdhsa--gfx950
amdhsa.version:
  - 1
  - 2
...

	.end_amdgpu_metadata
